;; amdgpu-corpus repo=zjin-lcf/HeCBench kind=compiled arch=gfx1250 opt=O3
	.amdgcn_target "amdgcn-amd-amdhsa--gfx1250"
	.amdhsa_code_object_version 6
	.section	.text._Z17workloadDiagonalsIjEvPKT_jS2_jPj,"axG",@progbits,_Z17workloadDiagonalsIjEvPKT_jS2_jPj,comdat
	.protected	_Z17workloadDiagonalsIjEvPKT_jS2_jPj ; -- Begin function _Z17workloadDiagonalsIjEvPKT_jS2_jPj
	.globl	_Z17workloadDiagonalsIjEvPKT_jS2_jPj
	.p2align	8
	.type	_Z17workloadDiagonalsIjEvPKT_jS2_jPj,@function
_Z17workloadDiagonalsIjEvPKT_jS2_jPj:   ; @_Z17workloadDiagonalsIjEvPKT_jS2_jPj
; %bb.0:
	s_clause 0x2
	s_load_b96 s[12:14], s[0:1], 0x0
	s_load_b96 s[8:10], s[0:1], 0x10
	s_load_b64 s[6:7], s[0:1], 0x20
	v_cmp_ne_u32_e64 s2, 0, v0
	s_mov_b32 s5, 0
	s_getreg_b32 s3, hwreg(HW_REG_IB_STS2, 6, 4)
	s_mov_b32 s11, exec_lo
	v_cmpx_eq_u32_e32 0, v0
	s_cbranch_execz .LBB0_5
; %bb.1:
	s_bfe_u32 s4, ttmp6, 0x4000c
	s_and_b32 s15, ttmp6, 15
	s_add_co_i32 s4, s4, 1
	s_wait_kmcnt 0x0
	s_mov_b32 s16, s14
	s_mul_i32 s4, ttmp9, s4
	s_mov_b32 s17, s5
	s_add_co_i32 s15, s15, s4
	s_cmp_eq_u32 s3, 0
	s_mov_b32 s18, s10
	s_mov_b32 s19, s5
	s_cselect_b32 s4, ttmp9, s15
	s_add_nc_u64 s[16:17], s[18:19], s[16:17]
	s_delay_alu instid0(SALU_CYCLE_1) | instskip(SKIP_2) | instid1(SALU_CYCLE_1)
	s_mul_u64 s[16:17], s[16:17], s[4:5]
	s_load_b32 s4, s[0:1], 0x28
	s_and_b64 s[18:19], s[16:17], 0xffffffff00000000
	s_cmp_lg_u64 s[18:19], 0
	s_cbranch_scc0 .LBB0_23
; %bb.2:
	s_wait_kmcnt 0x0
	s_cvt_f32_u32 s15, s4
	s_sub_nc_u64 s[22:23], 0, s[4:5]
	s_mov_b32 s19, 0
	s_delay_alu instid0(SALU_CYCLE_1) | instskip(NEXT) | instid1(SALU_CYCLE_3)
	s_fmamk_f32 s15, 0, 0x4f800000, s15
	v_s_rcp_f32 s15, s15
	s_delay_alu instid0(TRANS32_DEP_1) | instskip(NEXT) | instid1(SALU_CYCLE_3)
	s_mul_f32 s15, s15, 0x5f7ffffc
	s_mul_f32 s18, s15, 0x2f800000
	s_delay_alu instid0(SALU_CYCLE_3) | instskip(NEXT) | instid1(SALU_CYCLE_3)
	s_trunc_f32 s18, s18
	s_fmamk_f32 s15, s18, 0xcf800000, s15
	s_cvt_u32_f32 s21, s18
	s_delay_alu instid0(SALU_CYCLE_2) | instskip(NEXT) | instid1(SALU_CYCLE_3)
	s_cvt_u32_f32 s20, s15
	s_mul_u64 s[24:25], s[22:23], s[20:21]
	s_delay_alu instid0(SALU_CYCLE_1)
	s_mul_hi_u32 s27, s20, s25
	s_mul_i32 s26, s20, s25
	s_mul_hi_u32 s18, s20, s24
	s_mul_i32 s28, s21, s24
	s_add_nc_u64 s[26:27], s[18:19], s[26:27]
	s_mul_hi_u32 s15, s21, s24
	s_mul_hi_u32 s29, s21, s25
	s_add_co_u32 s18, s26, s28
	s_add_co_ci_u32 s18, s27, s15
	s_mul_i32 s24, s21, s25
	s_add_co_ci_u32 s25, s29, 0
	s_delay_alu instid0(SALU_CYCLE_1) | instskip(NEXT) | instid1(SALU_CYCLE_1)
	s_add_nc_u64 s[24:25], s[18:19], s[24:25]
	s_add_co_u32 s20, s20, s24
	s_cselect_b32 s15, -1, 0
	s_delay_alu instid0(SALU_CYCLE_1) | instskip(SKIP_1) | instid1(SALU_CYCLE_1)
	s_cmp_lg_u32 s15, 0
	s_add_co_ci_u32 s21, s21, s25
	s_mul_u64 s[22:23], s[22:23], s[20:21]
	s_delay_alu instid0(SALU_CYCLE_1)
	s_mul_hi_u32 s25, s20, s23
	s_mul_i32 s24, s20, s23
	s_mul_hi_u32 s18, s20, s22
	s_mul_i32 s26, s21, s22
	s_add_nc_u64 s[24:25], s[18:19], s[24:25]
	s_mul_hi_u32 s15, s21, s22
	s_mul_hi_u32 s27, s21, s23
	s_add_co_u32 s18, s24, s26
	s_add_co_ci_u32 s18, s25, s15
	s_mul_i32 s22, s21, s23
	s_add_co_ci_u32 s23, s27, 0
	s_delay_alu instid0(SALU_CYCLE_1) | instskip(NEXT) | instid1(SALU_CYCLE_1)
	s_add_nc_u64 s[22:23], s[18:19], s[22:23]
	s_add_co_u32 s15, s20, s22
	s_cselect_b32 s20, -1, 0
	s_mul_hi_u32 s18, s16, s15
	s_cmp_lg_u32 s20, 0
	s_mul_hi_u32 s24, s17, s15
	s_add_co_ci_u32 s22, s21, s23
	s_mul_i32 s15, s17, s15
	s_mul_hi_u32 s21, s16, s22
	s_mul_i32 s20, s16, s22
	s_mul_hi_u32 s23, s17, s22
	s_add_nc_u64 s[20:21], s[18:19], s[20:21]
	s_mul_i32 s22, s17, s22
	s_add_co_u32 s15, s20, s15
	s_add_co_ci_u32 s18, s21, s24
	s_add_co_ci_u32 s23, s23, 0
	s_delay_alu instid0(SALU_CYCLE_1) | instskip(NEXT) | instid1(SALU_CYCLE_1)
	s_add_nc_u64 s[20:21], s[18:19], s[22:23]
	s_and_b64 s[22:23], s[20:21], 0xffffffff00000000
	s_delay_alu instid0(SALU_CYCLE_1) | instskip(NEXT) | instid1(SALU_CYCLE_1)
	s_or_b32 s22, s22, s20
	s_mul_u64 s[20:21], s[4:5], s[22:23]
	s_add_nc_u64 s[24:25], s[22:23], 2
	s_sub_co_u32 s5, s16, s20
	s_cselect_b32 s15, -1, 0
	s_delay_alu instid0(SALU_CYCLE_1)
	s_cmp_lg_u32 s15, 0
	s_sub_co_ci_u32 s15, s17, s21
	s_sub_co_u32 s17, s5, s4
	s_cselect_b32 s18, -1, 0
	s_add_nc_u64 s[20:21], s[22:23], 1
	s_cmp_lg_u32 s18, 0
	s_sub_co_ci_u32 s18, s15, 0
	s_cmp_ge_u32 s17, s4
	s_cselect_b32 s17, -1, 0
	s_cmp_eq_u32 s18, 0
	s_cselect_b32 s17, s17, -1
	s_delay_alu instid0(SALU_CYCLE_1)
	s_cmp_lg_u32 s17, 0
	s_cselect_b32 s17, s24, s20
	s_cmp_ge_u32 s5, s4
	s_cselect_b32 s5, -1, 0
	s_cmp_eq_u32 s15, 0
	s_cselect_b32 s5, s5, -1
	s_delay_alu instid0(SALU_CYCLE_1)
	s_cmp_lg_u32 s5, 0
	s_cselect_b32 s20, s17, s22
	s_cbranch_execnz .LBB0_4
.LBB0_3:
	s_wait_kmcnt 0x0
	v_cvt_f32_u32_e32 v1, s4
	s_sub_co_i32 s15, 0, s4
	s_delay_alu instid0(VALU_DEP_1) | instskip(SKIP_1) | instid1(TRANS32_DEP_1)
	v_rcp_iflag_f32_e32 v1, v1
	v_nop
	v_mul_f32_e32 v1, 0x4f7ffffe, v1
	s_delay_alu instid0(VALU_DEP_1) | instskip(NEXT) | instid1(VALU_DEP_1)
	v_cvt_u32_f32_e32 v1, v1
	v_readfirstlane_b32 s5, v1
	s_mul_i32 s15, s15, s5
	s_delay_alu instid0(SALU_CYCLE_1) | instskip(NEXT) | instid1(SALU_CYCLE_1)
	s_mul_hi_u32 s15, s5, s15
	s_add_co_i32 s5, s5, s15
	s_delay_alu instid0(SALU_CYCLE_1) | instskip(NEXT) | instid1(SALU_CYCLE_1)
	s_mul_hi_u32 s5, s16, s5
	s_mul_i32 s15, s5, s4
	s_delay_alu instid0(SALU_CYCLE_1)
	s_sub_co_i32 s15, s16, s15
	s_add_co_i32 s16, s5, 1
	s_sub_co_i32 s17, s15, s4
	s_cmp_ge_u32 s15, s4
	s_cselect_b32 s5, s16, s5
	s_cselect_b32 s15, s17, s15
	s_add_co_i32 s16, s5, 1
	s_cmp_ge_u32 s15, s4
	s_cselect_b32 s20, s16, s5
.LBB0_4:
	s_wait_kmcnt 0x0
	s_mov_b64 s[4:5], src_shared_base
	s_min_u32 s4, s14, s20
	s_delay_alu instid0(SALU_CYCLE_1)
	v_dual_mov_b32 v1, 0 :: v_dual_mov_b32 v2, s4
	v_sub_nc_u32_e64 v3, s20, s14 clamp
	s_movk_i32 s4, 0x84
	s_movk_i32 s16, 0x88
	s_mov_b32 s17, s5
	flat_store_b32 v1, v2, s[4:5] scope:SCOPE_SYS
	s_wait_storecnt 0x0
	flat_store_b32 v1, v3, s[16:17] scope:SCOPE_SYS
	s_wait_storecnt 0x0
	flat_load_b32 v2, v1, s[16:17] scope:SCOPE_SYS
	s_wait_loadcnt 0x0
	s_wait_xcnt 0x0
	s_movk_i32 s16, 0x8c
	s_wait_dscnt 0x0
	flat_store_b32 v1, v2, s[16:17] scope:SCOPE_SYS
	s_wait_storecnt 0x0
	flat_load_b32 v2, v1, s[4:5] scope:SCOPE_SYS
	s_wait_loadcnt 0x0
	s_wait_xcnt 0x0
	s_movk_i32 s4, 0x90
	s_wait_dscnt 0x0
	flat_store_b32 v1, v2, s[4:5] scope:SCOPE_SYS
	s_wait_storecnt 0x0
	s_wait_xcnt 0x0
	s_movk_i32 s4, 0x80
	flat_store_b32 v1, v1, s[4:5] scope:SCOPE_SYS
	s_wait_storecnt 0x0
.LBB0_5:
	s_wait_xcnt 0x0
	s_or_b32 exec_lo, exec_lo, s11
	v_mov_b32_e32 v1, 0
	s_mov_b64 s[4:5], src_shared_base
	s_movk_i32 s4, 0x80
	s_wait_dscnt 0x0
	s_barrier_signal -1
	s_barrier_wait -1
	flat_load_b32 v1, v1, s[4:5] scope:SCOPE_SYS
	s_wait_loadcnt 0x0
	s_wait_xcnt 0x0
	s_mov_b32 s4, exec_lo
                                        ; implicit-def: $sgpr11
	s_wait_dscnt 0x0
	v_cmpx_ne_u32_e32 0, v1
	s_xor_b32 s4, exec_lo, s4
; %bb.6:
	s_bfe_u32 s5, ttmp6, 0x4000c
	s_and_b32 s11, ttmp6, 15
	s_add_co_i32 s5, s5, 1
	s_delay_alu instid0(SALU_CYCLE_1) | instskip(NEXT) | instid1(SALU_CYCLE_1)
	s_mul_i32 s5, ttmp9, s5
	s_add_co_i32 s11, s11, s5
	s_cmp_eq_u32 s3, 0
	s_cselect_b32 s11, ttmp9, s11
; %bb.7:
	s_or_saveexec_b32 s5, s4
	v_mov_b32_e32 v1, s11
	s_xor_b32 exec_lo, exec_lo, s5
	s_cbranch_execz .LBB0_20
; %bb.8:
	s_bfe_u32 s4, ttmp6, 0x4000c
	s_and_b32 s11, ttmp6, 15
	s_add_co_i32 s4, s4, 1
	v_dual_lshlrev_b32 v1, 2, v0 :: v_dual_add_nc_u32 v2, -16, v0
	s_mul_i32 s4, ttmp9, s4
	s_mov_b32 s19, 0
	s_add_co_i32 s11, s11, s4
	s_cmp_eq_u32 s3, 0
	v_dual_mov_b32 v4, 0 :: v_dual_add_nc_u32 v3, -4, v1
	s_cselect_b32 s18, ttmp9, s11
	v_dual_mov_b32 v5, 1 :: v_dual_mov_b32 v6, 0x84
	v_mov_b32_e32 v7, 0x88
	s_mov_b64 s[16:17], src_shared_base
	s_lshl_b64 s[20:21], s[18:19], 2
	s_add_nc_u64 s[22:23], s[0:1], 40
	s_wait_kmcnt 0x0
	s_add_nc_u64 s[20:21], s[6:7], s[20:21]
	s_add_co_i32 s11, s18, 1
	s_movk_i32 s24, 0x84
	s_mov_b32 s25, s17
	s_movk_i32 s26, 0x8c
	s_mov_b32 s27, s17
	;; [unrolled: 2-line block ×4, first 2 shown]
	s_movk_i32 s16, 0x80
	v_cmp_eq_u32_e32 vcc_lo, 16, v0
	s_branch .LBB0_10
.LBB0_9:                                ;   in Loop: Header=BB0_10 Depth=1
	s_wait_xcnt 0x0
	s_or_b32 exec_lo, exec_lo, s4
	s_wait_dscnt 0x0
	s_barrier_signal -1
	s_barrier_wait -1
	flat_load_b32 v8, v4, s[16:17] scope:SCOPE_SYS
	s_wait_loadcnt_dscnt 0x0
	v_cmp_ne_u32_e64 s3, 0, v8
	s_or_b32 s19, s3, s19
	s_delay_alu instid0(SALU_CYCLE_1)
	s_and_not1_b32 exec_lo, exec_lo, s19
	s_cbranch_execz .LBB0_19
.LBB0_10:                               ; =>This Inner Loop Header: Depth=1
	flat_load_b32 v8, v4, s[24:25] scope:SCOPE_SYS
	s_wait_loadcnt 0x0
	flat_load_b32 v9, v4, s[24:25] scope:SCOPE_SYS
	s_wait_loadcnt 0x0
	;; [unrolled: 2-line block ×5, first 2 shown]
	flat_load_b32 v13, v4, s[28:29] scope:SCOPE_SYS
	s_wait_loadcnt_dscnt 0x0
	v_dual_sub_nc_u32 v9, v9, v10 :: v_dual_sub_nc_u32 v10, v12, v13
	s_delay_alu instid0(VALU_DEP_1) | instskip(NEXT) | instid1(VALU_DEP_1)
	v_ashrrev_i32_e32 v9, 1, v9
	v_add_nc_u32_e32 v9, v0, v9
	s_delay_alu instid0(VALU_DEP_1) | instskip(NEXT) | instid1(VALU_DEP_1)
	v_dual_sub_nc_u32 v8, v8, v9 :: v_dual_ashrrev_i32 v9, 1, v10
	v_dual_mov_b32 v10, 0 :: v_dual_add_nc_u32 v8, 16, v8
	s_delay_alu instid0(VALU_DEP_2) | instskip(NEXT) | instid1(VALU_DEP_2)
	v_add3_u32 v9, v11, v2, v9
	v_cmp_gt_i32_e64 s3, s14, v8
	s_delay_alu instid0(VALU_DEP_2) | instskip(SKIP_1) | instid1(SALU_CYCLE_1)
	v_cmp_lt_i32_e64 s4, -1, v9
	s_and_b32 s3, s3, s4
	s_and_saveexec_b32 s15, s3
	s_cbranch_execz .LBB0_14
; %bb.11:                               ;   in Loop: Header=BB0_10 Depth=1
	v_cmp_gt_i32_e64 s3, s10, v9
	v_cmp_lt_i32_e64 s4, 0, v8
	v_mov_b32_e32 v10, 1
	s_and_b32 s3, s4, s3
	s_delay_alu instid0(SALU_CYCLE_1)
	s_and_saveexec_b32 s4, s3
	s_cbranch_execz .LBB0_13
; %bb.12:                               ;   in Loop: Header=BB0_10 Depth=1
	global_load_b32 v10, v8, s[12:13] offset:-4 scale_offset
	global_load_b32 v11, v9, s[8:9] scale_offset
	s_wait_loadcnt 0x0
	v_cmp_le_u32_e64 s3, v10, v11
	s_delay_alu instid0(VALU_DEP_1)
	v_cndmask_b32_e64 v10, 0, 1, s3
.LBB0_13:                               ;   in Loop: Header=BB0_10 Depth=1
	s_or_b32 exec_lo, exec_lo, s4
.LBB0_14:                               ;   in Loop: Header=BB0_10 Depth=1
	s_delay_alu instid0(SALU_CYCLE_1)
	s_or_b32 exec_lo, exec_lo, s15
	ds_store_b32 v1, v10
	s_wait_dscnt 0x0
	s_barrier_signal -1
	s_barrier_wait -1
	s_and_saveexec_b32 s4, s2
	s_cbranch_execz .LBB0_17
; %bb.15:                               ;   in Loop: Header=BB0_10 Depth=1
	ds_load_2addr_b32 v[10:11], v3 offset1:1
	s_wait_dscnt 0x0
	v_cmp_ne_u32_e64 s3, v11, v10
	s_and_b32 exec_lo, exec_lo, s3
	s_cbranch_execz .LBB0_17
; %bb.16:                               ;   in Loop: Header=BB0_10 Depth=1
	flat_store_b32 v4, v5, s[16:17] scope:SCOPE_SYS
	s_wait_storecnt 0x0
	s_load_b32 s3, s[22:23], 0x0
	s_wait_kmcnt 0x0
	s_add_co_i32 s3, s11, s3
	s_delay_alu instid0(SALU_CYCLE_1)
	v_mov_b32_e32 v10, s3
	s_clause 0x1
	global_store_b32 v4, v8, s[20:21]
	global_store_b32 v10, v9, s[6:7] scale_offset
.LBB0_17:                               ;   in Loop: Header=BB0_10 Depth=1
	s_wait_xcnt 0x0
	s_or_b32 exec_lo, exec_lo, s4
	s_wait_storecnt_dscnt 0x0
	s_barrier_signal -1
	s_barrier_wait -1
	s_and_saveexec_b32 s4, vcc_lo
	s_cbranch_execz .LBB0_9
; %bb.18:                               ;   in Loop: Header=BB0_10 Depth=1
	ds_load_b32 v10, v4 offset:124
	v_dual_mov_b32 v11, s17 :: v_dual_mov_b32 v13, s17
	s_wait_dscnt 0x0
	v_cmp_eq_u32_e64 s3, 0, v10
	s_delay_alu instid0(VALU_DEP_1)
	v_cndmask_b32_e64 v10, 0x8c, v6, s3
	v_cndmask_b32_e64 v12, 0x90, v7, s3
	flat_store_b32 v[10:11], v8 scope:SCOPE_SYS
	s_wait_storecnt 0x0
	flat_store_b32 v[12:13], v9 scope:SCOPE_SYS
	s_wait_storecnt 0x0
	s_branch .LBB0_9
.LBB0_19:
	s_or_b32 exec_lo, exec_lo, s19
	v_mov_b32_e32 v1, s18
.LBB0_20:
	s_or_b32 exec_lo, exec_lo, s5
	s_delay_alu instid0(VALU_DEP_1) | instskip(SKIP_1) | instid1(VALU_DEP_1)
	v_or_b32_e32 v0, v0, v1
	s_mov_b32 s2, exec_lo
	v_cmpx_eq_u32_e32 0, v0
	s_cbranch_execz .LBB0_22
; %bb.21:
	s_load_b32 s0, s[0:1], 0x28
	s_wait_kmcnt 0x0
	v_dual_mov_b32 v0, 0 :: v_dual_mov_b32 v1, s14
	s_add_co_i32 s1, s0, 1
	s_delay_alu instid0(SALU_CYCLE_1) | instskip(SKIP_1) | instid1(SALU_CYCLE_1)
	v_dual_mov_b32 v2, s10 :: v_dual_mov_b32 v3, s1
	s_lshl_b32 s2, s0, 1
	v_dual_mov_b32 v4, s0 :: v_dual_mov_b32 v5, s2
	s_clause 0x3
	global_store_b32 v0, v0, s[6:7]
	global_store_b32 v3, v0, s[6:7] scale_offset
	global_store_b32 v4, v1, s[6:7] scale_offset
	global_store_b32 v5, v2, s[6:7] offset:4 scale_offset
.LBB0_22:
	s_endpgm
.LBB0_23:
                                        ; implicit-def: $sgpr20_sgpr21
	s_branch .LBB0_3
	.section	.rodata,"a",@progbits
	.p2align	6, 0x0
	.amdhsa_kernel _Z17workloadDiagonalsIjEvPKT_jS2_jPj
		.amdhsa_group_segment_fixed_size 148
		.amdhsa_private_segment_fixed_size 0
		.amdhsa_kernarg_size 296
		.amdhsa_user_sgpr_count 2
		.amdhsa_user_sgpr_dispatch_ptr 0
		.amdhsa_user_sgpr_queue_ptr 0
		.amdhsa_user_sgpr_kernarg_segment_ptr 1
		.amdhsa_user_sgpr_dispatch_id 0
		.amdhsa_user_sgpr_kernarg_preload_length 0
		.amdhsa_user_sgpr_kernarg_preload_offset 0
		.amdhsa_user_sgpr_private_segment_size 0
		.amdhsa_wavefront_size32 1
		.amdhsa_uses_dynamic_stack 0
		.amdhsa_enable_private_segment 0
		.amdhsa_system_sgpr_workgroup_id_x 1
		.amdhsa_system_sgpr_workgroup_id_y 0
		.amdhsa_system_sgpr_workgroup_id_z 0
		.amdhsa_system_sgpr_workgroup_info 0
		.amdhsa_system_vgpr_workitem_id 0
		.amdhsa_next_free_vgpr 14
		.amdhsa_next_free_sgpr 32
		.amdhsa_named_barrier_count 0
		.amdhsa_reserve_vcc 1
		.amdhsa_float_round_mode_32 0
		.amdhsa_float_round_mode_16_64 0
		.amdhsa_float_denorm_mode_32 3
		.amdhsa_float_denorm_mode_16_64 3
		.amdhsa_fp16_overflow 0
		.amdhsa_memory_ordered 1
		.amdhsa_forward_progress 1
		.amdhsa_inst_pref_size 15
		.amdhsa_round_robin_scheduling 0
		.amdhsa_exception_fp_ieee_invalid_op 0
		.amdhsa_exception_fp_denorm_src 0
		.amdhsa_exception_fp_ieee_div_zero 0
		.amdhsa_exception_fp_ieee_overflow 0
		.amdhsa_exception_fp_ieee_underflow 0
		.amdhsa_exception_fp_ieee_inexact 0
		.amdhsa_exception_int_div_zero 0
	.end_amdhsa_kernel
	.section	.text._Z17workloadDiagonalsIjEvPKT_jS2_jPj,"axG",@progbits,_Z17workloadDiagonalsIjEvPKT_jS2_jPj,comdat
.Lfunc_end0:
	.size	_Z17workloadDiagonalsIjEvPKT_jS2_jPj, .Lfunc_end0-_Z17workloadDiagonalsIjEvPKT_jS2_jPj
                                        ; -- End function
	.set _Z17workloadDiagonalsIjEvPKT_jS2_jPj.num_vgpr, 14
	.set _Z17workloadDiagonalsIjEvPKT_jS2_jPj.num_agpr, 0
	.set _Z17workloadDiagonalsIjEvPKT_jS2_jPj.numbered_sgpr, 32
	.set _Z17workloadDiagonalsIjEvPKT_jS2_jPj.num_named_barrier, 0
	.set _Z17workloadDiagonalsIjEvPKT_jS2_jPj.private_seg_size, 0
	.set _Z17workloadDiagonalsIjEvPKT_jS2_jPj.uses_vcc, 1
	.set _Z17workloadDiagonalsIjEvPKT_jS2_jPj.uses_flat_scratch, 0
	.set _Z17workloadDiagonalsIjEvPKT_jS2_jPj.has_dyn_sized_stack, 0
	.set _Z17workloadDiagonalsIjEvPKT_jS2_jPj.has_recursion, 0
	.set _Z17workloadDiagonalsIjEvPKT_jS2_jPj.has_indirect_call, 0
	.section	.AMDGPU.csdata,"",@progbits
; Kernel info:
; codeLenInByte = 1868
; TotalNumSgprs: 34
; NumVgprs: 14
; ScratchSize: 0
; MemoryBound: 0
; FloatMode: 240
; IeeeMode: 1
; LDSByteSize: 148 bytes/workgroup (compile time only)
; SGPRBlocks: 0
; VGPRBlocks: 0
; NumSGPRsForWavesPerEU: 34
; NumVGPRsForWavesPerEU: 14
; NamedBarCnt: 0
; Occupancy: 16
; WaveLimiterHint : 1
; COMPUTE_PGM_RSRC2:SCRATCH_EN: 0
; COMPUTE_PGM_RSRC2:USER_SGPR: 2
; COMPUTE_PGM_RSRC2:TRAP_HANDLER: 0
; COMPUTE_PGM_RSRC2:TGID_X_EN: 1
; COMPUTE_PGM_RSRC2:TGID_Y_EN: 0
; COMPUTE_PGM_RSRC2:TGID_Z_EN: 0
; COMPUTE_PGM_RSRC2:TIDIG_COMP_CNT: 0
	.section	.text._Z15mergeSinglePathIjLb0ELb0EEvPKT_jS2_jPKjPS0_j,"axG",@progbits,_Z15mergeSinglePathIjLb0ELb0EEvPKT_jS2_jPKjPS0_j,comdat
	.protected	_Z15mergeSinglePathIjLb0ELb0EEvPKT_jS2_jPKjPS0_j ; -- Begin function _Z15mergeSinglePathIjLb0ELb0EEvPKT_jS2_jPKjPS0_j
	.globl	_Z15mergeSinglePathIjLb0ELb0EEvPKT_jS2_jPKjPS0_j
	.p2align	8
	.type	_Z15mergeSinglePathIjLb0ELb0EEvPKT_jS2_jPKjPS0_j,@function
_Z15mergeSinglePathIjLb0ELb0EEvPKT_jS2_jPKjPS0_j: ; @_Z15mergeSinglePathIjLb0ELb0EEvPKT_jS2_jPKjPS0_j
; %bb.0:
	s_clause 0x2
	s_load_b64 s[8:9], s[0:1], 0x0
	s_load_b64 s[10:11], s[0:1], 0x10
	s_load_b128 s[4:7], s[0:1], 0x20
	v_alignbit_b32 v1, v0, v0, 5
	s_mov_b32 s2, exec_lo
	s_delay_alu instid0(VALU_DEP_1)
	v_cmpx_lt_i32_e32 1, v1
	s_xor_b32 s2, exec_lo, s2
	s_cbranch_execz .LBB1_8
; %bb.1:
	s_mov_b32 s3, exec_lo
	v_cmpx_lt_i32_e32 2, v1
	s_xor_b32 s3, exec_lo, s3
	s_cbranch_execz .LBB1_5
; %bb.2:
	s_mov_b32 s12, exec_lo
	v_cmpx_eq_u32_e32 3, v1
	s_cbranch_execz .LBB1_4
; %bb.3:
	s_load_b32 s13, s[0:1], 0x38
	s_mov_b64 s[14:15], src_shared_base
	s_bfe_u32 s14, ttmp6, 0x4000c
	s_and_b32 s16, ttmp6, 15
	s_add_co_i32 s14, s14, 1
	s_getreg_b32 s17, hwreg(HW_REG_IB_STS2, 6, 4)
	s_mul_i32 s14, ttmp9, s14
	v_mov_b32_e32 v3, -1
	s_add_co_i32 s16, s16, s14
	s_cmp_eq_u32 s17, 0
	s_cselect_b32 s14, ttmp9, s16
	s_wait_kmcnt 0x0
	s_add_co_i32 s13, s14, s13
	s_movk_i32 s14, 0x101c
	s_add_co_i32 s13, s13, 2
	s_load_b32 s13, s[4:5], s13 offset:0x0 scale_offset
	s_wait_kmcnt 0x0
	v_dual_mov_b32 v1, 0 :: v_dual_mov_b32 v2, s13
	flat_store_b32 v1, v2, s[14:15] scope:SCOPE_SYS
	s_wait_storecnt 0x0
	ds_store_b32 v1, v3 offset:4108
.LBB1_4:
	s_wait_xcnt 0x0
	s_or_b32 exec_lo, exec_lo, s12
.LBB1_5:
	s_and_not1_saveexec_b32 s3, s3
	s_cbranch_execz .LBB1_7
; %bb.6:
	s_mov_b64 s[12:13], src_shared_base
	s_load_b32 s12, s[0:1], 0x38
	s_bfe_u32 s14, ttmp6, 0x4000c
	s_and_b32 s15, ttmp6, 15
	s_add_co_i32 s14, s14, 1
	s_getreg_b32 s16, hwreg(HW_REG_IB_STS2, 6, 4)
	s_mul_i32 s14, ttmp9, s14
	v_mov_b32_e32 v3, -1
	s_add_co_i32 s15, s15, s14
	s_cmp_eq_u32 s16, 0
	s_cselect_b32 s14, ttmp9, s15
	s_wait_kmcnt 0x0
	s_add_co_i32 s12, s14, s12
	s_delay_alu instid0(SALU_CYCLE_1)
	s_add_co_i32 s12, s12, 1
	s_load_b32 s12, s[4:5], s12 offset:0x0 scale_offset
	s_wait_kmcnt 0x0
	v_dual_mov_b32 v1, 0 :: v_dual_mov_b32 v2, s12
	s_movk_i32 s12, 0x1014
	flat_store_b32 v1, v2, s[12:13] scope:SCOPE_SYS
	s_wait_storecnt 0x0
	ds_store_b32 v1, v3 offset:2052
.LBB1_7:
	s_wait_xcnt 0x0
	s_or_b32 exec_lo, exec_lo, s3
                                        ; implicit-def: $vgpr1
.LBB1_8:
	s_and_not1_saveexec_b32 s2, s2
	s_cbranch_execz .LBB1_16
; %bb.9:
	s_mov_b32 s3, exec_lo
	v_cmpx_lt_i32_e32 0, v1
	s_xor_b32 s3, exec_lo, s3
	s_cbranch_execz .LBB1_11
; %bb.10:
	s_mov_b64 s[12:13], src_shared_base
	s_bfe_u32 s12, ttmp6, 0x4000c
	s_and_b32 s14, ttmp6, 15
	s_add_co_i32 s12, s12, 1
	s_getreg_b32 s15, hwreg(HW_REG_IB_STS2, 6, 4)
	s_mul_i32 s12, ttmp9, s12
	s_delay_alu instid0(SALU_CYCLE_1) | instskip(SKIP_2) | instid1(SALU_CYCLE_1)
	s_add_co_i32 s14, s14, s12
	s_cmp_eq_u32 s15, 0
	s_cselect_b32 s12, ttmp9, s14
	s_add_co_i32 s12, s12, 1
	s_wait_kmcnt 0x0
	s_load_b32 s12, s[4:5], s12 offset:0x0 scale_offset
	s_wait_kmcnt 0x0
	v_dual_mov_b32 v1, 0 :: v_dual_mov_b32 v2, s12
	s_movk_i32 s12, 0x1018
	flat_store_b32 v1, v2, s[12:13] scope:SCOPE_SYS
	s_wait_storecnt 0x0
	ds_store_b32 v1, v1 offset:2056
                                        ; implicit-def: $vgpr1
.LBB1_11:
	s_wait_xcnt 0x0
	s_and_not1_saveexec_b32 s3, s3
	s_cbranch_execz .LBB1_15
; %bb.12:
	s_mov_b32 s12, exec_lo
	v_cmpx_eq_u32_e32 0, v1
	s_cbranch_execz .LBB1_14
; %bb.13:
	s_bfe_u32 s13, ttmp6, 0x4000c
	s_mov_b64 s[14:15], src_shared_base
	s_add_co_i32 s13, s13, 1
	s_and_b32 s14, ttmp6, 15
	s_mul_i32 s13, ttmp9, s13
	s_getreg_b32 s16, hwreg(HW_REG_IB_STS2, 6, 4)
	s_add_co_i32 s14, s14, s13
	s_cmp_eq_u32 s16, 0
	s_cselect_b32 s13, ttmp9, s14
	s_movk_i32 s14, 0x1010
	s_wait_kmcnt 0x0
	s_load_b32 s4, s[4:5], s13 offset:0x0 scale_offset
	s_wait_kmcnt 0x0
	v_dual_mov_b32 v1, 0 :: v_dual_mov_b32 v2, s4
	flat_store_b32 v1, v2, s[14:15] scope:SCOPE_SYS
	s_wait_storecnt 0x0
	ds_store_b32 v1, v1
.LBB1_14:
	s_wait_xcnt 0x0
	s_or_b32 exec_lo, exec_lo, s12
.LBB1_15:
	s_delay_alu instid0(SALU_CYCLE_1)
	s_or_b32 exec_lo, exec_lo, s3
.LBB1_16:
	s_delay_alu instid0(SALU_CYCLE_1)
	s_or_b32 exec_lo, exec_lo, s2
	v_dual_lshlrev_b32 v2, 2, v0 :: v_dual_lshlrev_b32 v14, 1, v0
	v_mov_b32_e32 v1, 0
	s_mov_b64 s[2:3], src_shared_base
	s_wait_kmcnt 0x0
	s_add_nc_u64 s[4:5], s[0:1], 56
	v_or_b32_e32 v15, 2, v2
	v_dual_mov_b32 v3, v1 :: v_dual_bitop2_b32 v16, 1, v14 bitop3:0x54
	v_mad_u32_u24 v17, v0, 12, v2
	v_lshlrev_b32_e32 v8, 2, v2
	s_mov_b32 s1, 0
	s_movk_i32 s2, 0x1014
	v_add_nc_u64_e32 v[4:5], s[8:9], v[2:3]
	v_add_nc_u64_e32 v[6:7], s[10:11], v[2:3]
	s_movk_i32 s8, 0x1010
	s_mov_b32 s9, s3
	s_movk_i32 s10, 0x1018
	s_mov_b32 s11, s3
	;; [unrolled: 2-line block ×3, first 2 shown]
	s_wait_dscnt 0x0
	s_barrier_signal -1
	s_barrier_wait -1
	v_cmp_eq_u32_e32 vcc_lo, 0x7f, v0
	s_branch .LBB1_19
.LBB1_17:                               ;   in Loop: Header=BB1_19 Depth=1
	s_wait_xcnt 0x0
	s_or_b32 exec_lo, exec_lo, s0
	s_delay_alu instid0(SALU_CYCLE_1)
	s_xor_b32 s0, exec_lo, -1
	s_wait_storecnt_dscnt 0x0
	s_barrier_signal -1
	s_barrier_wait -1
.LBB1_18:                               ;   in Loop: Header=BB1_19 Depth=1
	s_or_b32 exec_lo, exec_lo, s13
	s_delay_alu instid0(SALU_CYCLE_1) | instskip(NEXT) | instid1(SALU_CYCLE_1)
	s_and_b32 s0, exec_lo, s0
	s_or_b32 s14, s0, s14
	s_delay_alu instid0(SALU_CYCLE_1)
	s_and_not1_b32 exec_lo, exec_lo, s14
	s_cbranch_execz .LBB1_43
.LBB1_19:                               ; =>This Loop Header: Depth=1
                                        ;     Child Loop BB1_24 Depth 2
	flat_load_b32 v0, v1, s[8:9] scope:SCOPE_SYS
	s_wait_loadcnt 0x0
	flat_load_b32 v3, v1, s[10:11] scope:SCOPE_SYS
	s_wait_loadcnt 0x0
	s_mov_b32 s16, -1
	s_mov_b32 s15, exec_lo
	s_wait_dscnt 0x0
	s_wait_xcnt 0x0
	v_cmpx_ge_u32_e64 v0, v3
	s_cbranch_execz .LBB1_21
; %bb.20:                               ;   in Loop: Header=BB1_19 Depth=1
	s_mov_b32 s13, s3
	flat_load_b32 v0, v1, s[2:3] scope:SCOPE_SYS
	s_wait_loadcnt 0x0
	flat_load_b32 v3, v1, s[12:13] scope:SCOPE_SYS
	s_wait_loadcnt_dscnt 0x0
	v_cmp_lt_u32_e64 s0, v0, v3
	s_or_not1_b32 s16, s0, exec_lo
.LBB1_21:                               ;   in Loop: Header=BB1_19 Depth=1
	s_or_b32 exec_lo, exec_lo, s15
	s_mov_b32 s0, -1
	s_and_saveexec_b32 s13, s16
	s_cbranch_execz .LBB1_18
; %bb.22:                               ;   in Loop: Header=BB1_19 Depth=1
	flat_load_b32 v0, v1, s[8:9] scope:SCOPE_SYS
	s_wait_loadcnt 0x0
	flat_load_b32 v10, v1, s[2:3] scope:SCOPE_SYS
	s_wait_loadcnt 0x0
	s_load_b32 s0, s[4:5], 0xc
	s_mov_b32 s15, 0
	s_mov_b32 s16, 0
                                        ; implicit-def: $sgpr17
	s_wait_kmcnt 0x0
	s_and_b32 s0, s0, 0xffff
	s_delay_alu instid0(SALU_CYCLE_1) | instskip(SKIP_4) | instid1(VALU_DEP_2)
	s_lshl_b32 s0, s0, 2
	v_mov_b32_e32 v11, v1
	s_wait_dscnt 0x1
	v_lshl_add_u64 v[12:13], v[0:1], 2, v[4:5]
	s_wait_dscnt 0x0
	v_lshl_add_u64 v[10:11], v[10:11], 2, v[6:7]
	s_delay_alu instid0(VALU_DEP_2) | instskip(NEXT) | instid1(VALU_DEP_2)
	v_add_nc_u64_e32 v[18:19], s[0:1], v[12:13]
	v_add_nc_u64_e32 v[20:21], s[0:1], v[10:11]
	global_load_b32 v0, v[12:13], off
	v_add_nc_u64_e32 v[22:23], s[0:1], v[18:19]
	v_add_nc_u64_e32 v[24:25], s[0:1], v[20:21]
	s_wait_xcnt 0x0
	s_delay_alu instid0(VALU_DEP_2) | instskip(NEXT) | instid1(VALU_DEP_2)
	v_add_nc_u64_e32 v[12:13], s[0:1], v[22:23]
	v_add_nc_u64_e32 v[26:27], s[0:1], v[24:25]
	global_load_b32 v3, v[10:11], off
	global_load_b32 v9, v[18:19], off
	;; [unrolled: 1-line block ×7, first 2 shown]
	s_wait_xcnt 0x1
	v_dual_mov_b32 v13, v16 :: v_dual_add_nc_u32 v10, s0, v2
	s_delay_alu instid0(VALU_DEP_1) | instskip(NEXT) | instid1(VALU_DEP_1)
	v_add_nc_u32_e32 v11, s0, v10
	v_add_nc_u32_e32 v12, s0, v11
	s_wait_loadcnt 0x7
	ds_store_b32 v2, v0 offset:4
	s_wait_loadcnt 0x6
	ds_store_b32 v2, v3 offset:2060
	;; [unrolled: 2-line block ×8, first 2 shown]
	flat_load_b32 v0, v1, s[8:9] scope:SCOPE_SYS
	s_wait_loadcnt 0x0
	flat_load_b32 v10, v1, s[2:3] scope:SCOPE_SYS
	s_wait_loadcnt 0x0
	v_mov_b32_e32 v3, v14
	s_wait_dscnt 0x0
	s_barrier_signal -1
	s_barrier_wait -1
	s_branch .LBB1_24
.LBB1_23:                               ;   in Loop: Header=BB1_24 Depth=2
	s_or_b32 exec_lo, exec_lo, s17
	s_delay_alu instid0(SALU_CYCLE_1) | instskip(SKIP_2) | instid1(SALU_CYCLE_1)
	s_and_b32 s0, exec_lo, s16
	s_mov_b32 s16, 0
	s_or_b32 s15, s0, s15
                                        ; implicit-def: $sgpr17
	s_and_not1_b32 exec_lo, exec_lo, s15
	s_cbranch_execz .LBB1_29
.LBB1_24:                               ;   Parent Loop BB1_19 Depth=1
                                        ; =>  This Inner Loop Header: Depth=2
	v_dual_mov_b32 v9, v13 :: v_dual_add_nc_u32 v3, 1, v3
	s_or_b32 s17, s17, exec_lo
	s_delay_alu instid0(VALU_DEP_1) | instskip(NEXT) | instid1(VALU_DEP_2)
	v_not_b32_e32 v12, v9
	v_dual_lshlrev_b32 v11, 2, v9 :: v_dual_lshrrev_b32 v3, 1, v3
	s_delay_alu instid0(VALU_DEP_2)
	v_lshl_add_u32 v18, v12, 2, v17
	ds_load_b32 v12, v11
	ds_load_b32 v13, v18 offset:2064
	s_wait_dscnt 0x0
	v_cmp_le_u32_e64 s0, v12, v13
                                        ; implicit-def: $vgpr13
	s_wait_xcnt 0x0
	s_and_saveexec_b32 s18, s0
; %bb.25:                               ;   in Loop: Header=BB1_24 Depth=2
	v_add_nc_u32_e32 v13, v3, v9
	s_and_not1_b32 s17, s17, exec_lo
; %bb.26:                               ;   in Loop: Header=BB1_24 Depth=2
	s_or_b32 exec_lo, exec_lo, s18
	s_delay_alu instid0(SALU_CYCLE_1) | instskip(NEXT) | instid1(SALU_CYCLE_1)
	s_and_b32 s0, exec_lo, s17
	s_or_b32 s16, s0, s16
	s_delay_alu instid0(SALU_CYCLE_1)
	s_and_not1_b32 exec_lo, exec_lo, s16
	s_cbranch_execnz .LBB1_24
; %bb.27:                               ;   in Loop: Header=BB1_24 Depth=2
	s_or_b32 exec_lo, exec_lo, s16
	v_add_nc_u32_e32 v13, -4, v11
	s_mov_b32 s16, -1
	ds_load_b32 v13, v13
	ds_load_b32 v18, v18 offset:2068
	s_wait_dscnt 0x0
	v_cmp_gt_u32_e64 s0, v13, v18
                                        ; implicit-def: $vgpr13
	s_and_saveexec_b32 s17, s0
	s_cbranch_execz .LBB1_23
; %bb.28:                               ;   in Loop: Header=BB1_24 Depth=2
	v_sub_nc_u32_e32 v13, v9, v3
	s_xor_b32 s16, exec_lo, -1
	s_branch .LBB1_23
.LBB1_29:                               ;   in Loop: Header=BB1_19 Depth=1
	s_or_b32 exec_lo, exec_lo, s15
	v_sub_nc_u32_e32 v3, v2, v9
                                        ; implicit-def: $vgpr13
                                        ; implicit-def: $vgpr18
	s_delay_alu instid0(VALU_DEP_1) | instskip(SKIP_4) | instid1(SALU_CYCLE_1)
	v_lshlrev_b32_e32 v21, 2, v3
	ds_load_b32 v20, v21 offset:2064
	s_wait_dscnt 0x0
	v_cmp_le_u32_e64 s0, v12, v20
	s_and_saveexec_b32 s15, s0
	s_xor_b32 s0, exec_lo, s15
; %bb.30:                               ;   in Loop: Header=BB1_19 Depth=1
	ds_load_b32 v13, v11 offset:4
	v_add_nc_u32_e32 v18, 1, v9
                                        ; implicit-def: $vgpr21
; %bb.31:                               ;   in Loop: Header=BB1_19 Depth=1
	s_or_saveexec_b32 s0, s0
	v_dual_sub_nc_u32 v3, v15, v9 :: v_dual_mov_b32 v19, v20
	s_xor_b32 exec_lo, exec_lo, s0
	s_cbranch_execz .LBB1_33
; %bb.32:                               ;   in Loop: Header=BB1_19 Depth=1
	ds_load_b32 v19, v21 offset:2068
	v_dual_mov_b32 v18, v9 :: v_dual_add_nc_u32 v3, 1, v3
	s_wait_dscnt 0x1
	v_dual_mov_b32 v13, v12 :: v_dual_mov_b32 v12, v20
.LBB1_33:                               ;   in Loop: Header=BB1_19 Depth=1
	s_or_b32 exec_lo, exec_lo, s0
	v_dual_mov_b32 v11, v1 :: v_dual_mov_b32 v9, v1
	v_lshl_add_u64 v[20:21], v[0:1], 2, s[6:7]
	s_wait_dscnt 0x0
	v_cmp_le_u32_e64 s0, v13, v19
                                        ; implicit-def: $vgpr0
	s_delay_alu instid0(VALU_DEP_2) | instskip(NEXT) | instid1(VALU_DEP_1)
	v_lshl_add_u64 v[10:11], v[10:11], 2, v[20:21]
	v_add_nc_u64_e32 v[10:11], v[10:11], v[8:9]
	global_store_b32 v[10:11], v12, off
                                        ; implicit-def: $vgpr12
	s_wait_xcnt 0x0
	s_and_saveexec_b32 s15, s0
	s_delay_alu instid0(SALU_CYCLE_1)
	s_xor_b32 s0, exec_lo, s15
; %bb.34:                               ;   in Loop: Header=BB1_19 Depth=1
	v_lshlrev_b32_e32 v0, 2, v18
	ds_load_b32 v12, v0 offset:4
	v_add_nc_u32_e32 v0, 1, v18
                                        ; implicit-def: $vgpr18
; %bb.35:                               ;   in Loop: Header=BB1_19 Depth=1
	s_or_saveexec_b32 s0, s0
	v_mov_b32_e32 v9, v19
	s_xor_b32 exec_lo, exec_lo, s0
	s_cbranch_execz .LBB1_37
; %bb.36:                               ;   in Loop: Header=BB1_19 Depth=1
	v_dual_lshlrev_b32 v0, 2, v3 :: v_dual_add_nc_u32 v3, 1, v3
	s_wait_dscnt 0x0
	v_dual_mov_b32 v12, v13 :: v_dual_mov_b32 v13, v19
	ds_load_b32 v9, v0 offset:2060
	v_mov_b32_e32 v0, v18
.LBB1_37:                               ;   in Loop: Header=BB1_19 Depth=1
	s_or_b32 exec_lo, exec_lo, s0
	s_wait_dscnt 0x0
	v_cmp_le_u32_e64 s0, v12, v9
	global_store_b32 v[10:11], v13, off offset:4
                                        ; implicit-def: $vgpr13
	s_wait_xcnt 0x0
	s_and_saveexec_b32 s15, s0
	s_delay_alu instid0(SALU_CYCLE_1)
	s_xor_b32 s0, exec_lo, s15
; %bb.38:                               ;   in Loop: Header=BB1_19 Depth=1
	v_dual_lshlrev_b32 v13, 2, v0 :: v_dual_add_nc_u32 v3, -1, v3
	ds_load_b32 v13, v13 offset:4
; %bb.39:                               ;   in Loop: Header=BB1_19 Depth=1
	s_or_saveexec_b32 s0, s0
	v_mov_b32_e32 v18, v9
	s_xor_b32 exec_lo, exec_lo, s0
	s_cbranch_execz .LBB1_41
; %bb.40:                               ;   in Loop: Header=BB1_19 Depth=1
	s_wait_dscnt 0x0
	v_dual_lshlrev_b32 v13, 2, v3 :: v_dual_add_nc_u32 v0, -1, v0
	ds_load_b32 v18, v13 offset:2060
	v_dual_mov_b32 v13, v12 :: v_dual_mov_b32 v12, v9
.LBB1_41:                               ;   in Loop: Header=BB1_19 Depth=1
	s_or_b32 exec_lo, exec_lo, s0
	s_wait_dscnt 0x0
	s_delay_alu instid0(VALU_DEP_1)
	v_min_u32_e32 v13, v13, v18
	global_store_b64 v[10:11], v[12:13], off offset:8
	s_wait_xcnt 0x0
	s_and_saveexec_b32 s0, vcc_lo
	s_cbranch_execz .LBB1_17
; %bb.42:                               ;   in Loop: Header=BB1_19 Depth=1
	flat_load_b32 v9, v1, s[8:9] scope:SCOPE_SYS
	s_wait_loadcnt_dscnt 0x0
	v_add_nc_u32_e32 v0, v9, v0
	flat_store_b32 v1, v0, s[8:9] scope:SCOPE_SYS
	s_wait_storecnt 0x0
	flat_load_b32 v0, v1, s[2:3] scope:SCOPE_SYS
	s_wait_loadcnt_dscnt 0x0
	v_add_nc_u32_e32 v0, v0, v3
	flat_store_b32 v1, v0, s[2:3] scope:SCOPE_SYS
	s_wait_storecnt 0x0
	s_branch .LBB1_17
.LBB1_43:
	s_endpgm
	.section	.rodata,"a",@progbits
	.p2align	6, 0x0
	.amdhsa_kernel _Z15mergeSinglePathIjLb0ELb0EEvPKT_jS2_jPKjPS0_j
		.amdhsa_group_segment_fixed_size 4128
		.amdhsa_private_segment_fixed_size 0
		.amdhsa_kernarg_size 312
		.amdhsa_user_sgpr_count 2
		.amdhsa_user_sgpr_dispatch_ptr 0
		.amdhsa_user_sgpr_queue_ptr 0
		.amdhsa_user_sgpr_kernarg_segment_ptr 1
		.amdhsa_user_sgpr_dispatch_id 0
		.amdhsa_user_sgpr_kernarg_preload_length 0
		.amdhsa_user_sgpr_kernarg_preload_offset 0
		.amdhsa_user_sgpr_private_segment_size 0
		.amdhsa_wavefront_size32 1
		.amdhsa_uses_dynamic_stack 0
		.amdhsa_enable_private_segment 0
		.amdhsa_system_sgpr_workgroup_id_x 1
		.amdhsa_system_sgpr_workgroup_id_y 0
		.amdhsa_system_sgpr_workgroup_id_z 0
		.amdhsa_system_sgpr_workgroup_info 0
		.amdhsa_system_vgpr_workitem_id 0
		.amdhsa_next_free_vgpr 33
		.amdhsa_next_free_sgpr 19
		.amdhsa_named_barrier_count 0
		.amdhsa_reserve_vcc 1
		.amdhsa_float_round_mode_32 0
		.amdhsa_float_round_mode_16_64 0
		.amdhsa_float_denorm_mode_32 3
		.amdhsa_float_denorm_mode_16_64 3
		.amdhsa_fp16_overflow 0
		.amdhsa_memory_ordered 1
		.amdhsa_forward_progress 1
		.amdhsa_inst_pref_size 16
		.amdhsa_round_robin_scheduling 0
		.amdhsa_exception_fp_ieee_invalid_op 0
		.amdhsa_exception_fp_denorm_src 0
		.amdhsa_exception_fp_ieee_div_zero 0
		.amdhsa_exception_fp_ieee_overflow 0
		.amdhsa_exception_fp_ieee_underflow 0
		.amdhsa_exception_fp_ieee_inexact 0
		.amdhsa_exception_int_div_zero 0
	.end_amdhsa_kernel
	.section	.text._Z15mergeSinglePathIjLb0ELb0EEvPKT_jS2_jPKjPS0_j,"axG",@progbits,_Z15mergeSinglePathIjLb0ELb0EEvPKT_jS2_jPKjPS0_j,comdat
.Lfunc_end1:
	.size	_Z15mergeSinglePathIjLb0ELb0EEvPKT_jS2_jPKjPS0_j, .Lfunc_end1-_Z15mergeSinglePathIjLb0ELb0EEvPKT_jS2_jPKjPS0_j
                                        ; -- End function
	.set _Z15mergeSinglePathIjLb0ELb0EEvPKT_jS2_jPKjPS0_j.num_vgpr, 33
	.set _Z15mergeSinglePathIjLb0ELb0EEvPKT_jS2_jPKjPS0_j.num_agpr, 0
	.set _Z15mergeSinglePathIjLb0ELb0EEvPKT_jS2_jPKjPS0_j.numbered_sgpr, 19
	.set _Z15mergeSinglePathIjLb0ELb0EEvPKT_jS2_jPKjPS0_j.num_named_barrier, 0
	.set _Z15mergeSinglePathIjLb0ELb0EEvPKT_jS2_jPKjPS0_j.private_seg_size, 0
	.set _Z15mergeSinglePathIjLb0ELb0EEvPKT_jS2_jPKjPS0_j.uses_vcc, 1
	.set _Z15mergeSinglePathIjLb0ELb0EEvPKT_jS2_jPKjPS0_j.uses_flat_scratch, 0
	.set _Z15mergeSinglePathIjLb0ELb0EEvPKT_jS2_jPKjPS0_j.has_dyn_sized_stack, 0
	.set _Z15mergeSinglePathIjLb0ELb0EEvPKT_jS2_jPKjPS0_j.has_recursion, 0
	.set _Z15mergeSinglePathIjLb0ELb0EEvPKT_jS2_jPKjPS0_j.has_indirect_call, 0
	.section	.AMDGPU.csdata,"",@progbits
; Kernel info:
; codeLenInByte = 1996
; TotalNumSgprs: 21
; NumVgprs: 33
; ScratchSize: 0
; MemoryBound: 0
; FloatMode: 240
; IeeeMode: 1
; LDSByteSize: 4128 bytes/workgroup (compile time only)
; SGPRBlocks: 0
; VGPRBlocks: 2
; NumSGPRsForWavesPerEU: 21
; NumVGPRsForWavesPerEU: 33
; NamedBarCnt: 0
; Occupancy: 16
; WaveLimiterHint : 1
; COMPUTE_PGM_RSRC2:SCRATCH_EN: 0
; COMPUTE_PGM_RSRC2:USER_SGPR: 2
; COMPUTE_PGM_RSRC2:TRAP_HANDLER: 0
; COMPUTE_PGM_RSRC2:TGID_X_EN: 1
; COMPUTE_PGM_RSRC2:TGID_Y_EN: 0
; COMPUTE_PGM_RSRC2:TGID_Z_EN: 0
; COMPUTE_PGM_RSRC2:TIDIG_COMP_CNT: 0
	.section	.text._Z17workloadDiagonalsIfEvPKT_jS2_jPj,"axG",@progbits,_Z17workloadDiagonalsIfEvPKT_jS2_jPj,comdat
	.protected	_Z17workloadDiagonalsIfEvPKT_jS2_jPj ; -- Begin function _Z17workloadDiagonalsIfEvPKT_jS2_jPj
	.globl	_Z17workloadDiagonalsIfEvPKT_jS2_jPj
	.p2align	8
	.type	_Z17workloadDiagonalsIfEvPKT_jS2_jPj,@function
_Z17workloadDiagonalsIfEvPKT_jS2_jPj:   ; @_Z17workloadDiagonalsIfEvPKT_jS2_jPj
; %bb.0:
	s_clause 0x2
	s_load_b96 s[12:14], s[0:1], 0x0
	s_load_b96 s[8:10], s[0:1], 0x10
	s_load_b64 s[6:7], s[0:1], 0x20
	v_cmp_ne_u32_e64 s2, 0, v0
	s_mov_b32 s5, 0
	s_getreg_b32 s3, hwreg(HW_REG_IB_STS2, 6, 4)
	s_mov_b32 s11, exec_lo
	v_cmpx_eq_u32_e32 0, v0
	s_cbranch_execz .LBB2_5
; %bb.1:
	s_bfe_u32 s4, ttmp6, 0x4000c
	s_and_b32 s15, ttmp6, 15
	s_add_co_i32 s4, s4, 1
	s_wait_kmcnt 0x0
	s_mov_b32 s16, s14
	s_mul_i32 s4, ttmp9, s4
	s_mov_b32 s17, s5
	s_add_co_i32 s15, s15, s4
	s_cmp_eq_u32 s3, 0
	s_mov_b32 s18, s10
	s_mov_b32 s19, s5
	s_cselect_b32 s4, ttmp9, s15
	s_add_nc_u64 s[16:17], s[18:19], s[16:17]
	s_delay_alu instid0(SALU_CYCLE_1) | instskip(SKIP_2) | instid1(SALU_CYCLE_1)
	s_mul_u64 s[16:17], s[16:17], s[4:5]
	s_load_b32 s4, s[0:1], 0x28
	s_and_b64 s[18:19], s[16:17], 0xffffffff00000000
	s_cmp_lg_u64 s[18:19], 0
	s_cbranch_scc0 .LBB2_23
; %bb.2:
	s_wait_kmcnt 0x0
	s_cvt_f32_u32 s15, s4
	s_sub_nc_u64 s[22:23], 0, s[4:5]
	s_mov_b32 s19, 0
	s_delay_alu instid0(SALU_CYCLE_1) | instskip(NEXT) | instid1(SALU_CYCLE_3)
	s_fmamk_f32 s15, 0, 0x4f800000, s15
	v_s_rcp_f32 s15, s15
	s_delay_alu instid0(TRANS32_DEP_1) | instskip(NEXT) | instid1(SALU_CYCLE_3)
	s_mul_f32 s15, s15, 0x5f7ffffc
	s_mul_f32 s18, s15, 0x2f800000
	s_delay_alu instid0(SALU_CYCLE_3) | instskip(NEXT) | instid1(SALU_CYCLE_3)
	s_trunc_f32 s18, s18
	s_fmamk_f32 s15, s18, 0xcf800000, s15
	s_cvt_u32_f32 s21, s18
	s_delay_alu instid0(SALU_CYCLE_2) | instskip(NEXT) | instid1(SALU_CYCLE_3)
	s_cvt_u32_f32 s20, s15
	s_mul_u64 s[24:25], s[22:23], s[20:21]
	s_delay_alu instid0(SALU_CYCLE_1)
	s_mul_hi_u32 s27, s20, s25
	s_mul_i32 s26, s20, s25
	s_mul_hi_u32 s18, s20, s24
	s_mul_i32 s28, s21, s24
	s_add_nc_u64 s[26:27], s[18:19], s[26:27]
	s_mul_hi_u32 s15, s21, s24
	s_mul_hi_u32 s29, s21, s25
	s_add_co_u32 s18, s26, s28
	s_add_co_ci_u32 s18, s27, s15
	s_mul_i32 s24, s21, s25
	s_add_co_ci_u32 s25, s29, 0
	s_delay_alu instid0(SALU_CYCLE_1) | instskip(NEXT) | instid1(SALU_CYCLE_1)
	s_add_nc_u64 s[24:25], s[18:19], s[24:25]
	s_add_co_u32 s20, s20, s24
	s_cselect_b32 s15, -1, 0
	s_delay_alu instid0(SALU_CYCLE_1) | instskip(SKIP_1) | instid1(SALU_CYCLE_1)
	s_cmp_lg_u32 s15, 0
	s_add_co_ci_u32 s21, s21, s25
	s_mul_u64 s[22:23], s[22:23], s[20:21]
	s_delay_alu instid0(SALU_CYCLE_1)
	s_mul_hi_u32 s25, s20, s23
	s_mul_i32 s24, s20, s23
	s_mul_hi_u32 s18, s20, s22
	s_mul_i32 s26, s21, s22
	s_add_nc_u64 s[24:25], s[18:19], s[24:25]
	s_mul_hi_u32 s15, s21, s22
	s_mul_hi_u32 s27, s21, s23
	s_add_co_u32 s18, s24, s26
	s_add_co_ci_u32 s18, s25, s15
	s_mul_i32 s22, s21, s23
	s_add_co_ci_u32 s23, s27, 0
	s_delay_alu instid0(SALU_CYCLE_1) | instskip(NEXT) | instid1(SALU_CYCLE_1)
	s_add_nc_u64 s[22:23], s[18:19], s[22:23]
	s_add_co_u32 s15, s20, s22
	s_cselect_b32 s20, -1, 0
	s_mul_hi_u32 s18, s16, s15
	s_cmp_lg_u32 s20, 0
	s_mul_hi_u32 s24, s17, s15
	s_add_co_ci_u32 s22, s21, s23
	s_mul_i32 s15, s17, s15
	s_mul_hi_u32 s21, s16, s22
	s_mul_i32 s20, s16, s22
	s_mul_hi_u32 s23, s17, s22
	s_add_nc_u64 s[20:21], s[18:19], s[20:21]
	s_mul_i32 s22, s17, s22
	s_add_co_u32 s15, s20, s15
	s_add_co_ci_u32 s18, s21, s24
	s_add_co_ci_u32 s23, s23, 0
	s_delay_alu instid0(SALU_CYCLE_1) | instskip(NEXT) | instid1(SALU_CYCLE_1)
	s_add_nc_u64 s[20:21], s[18:19], s[22:23]
	s_and_b64 s[22:23], s[20:21], 0xffffffff00000000
	s_delay_alu instid0(SALU_CYCLE_1) | instskip(NEXT) | instid1(SALU_CYCLE_1)
	s_or_b32 s22, s22, s20
	s_mul_u64 s[20:21], s[4:5], s[22:23]
	s_add_nc_u64 s[24:25], s[22:23], 2
	s_sub_co_u32 s5, s16, s20
	s_cselect_b32 s15, -1, 0
	s_delay_alu instid0(SALU_CYCLE_1)
	s_cmp_lg_u32 s15, 0
	s_sub_co_ci_u32 s15, s17, s21
	s_sub_co_u32 s17, s5, s4
	s_cselect_b32 s18, -1, 0
	s_add_nc_u64 s[20:21], s[22:23], 1
	s_cmp_lg_u32 s18, 0
	s_sub_co_ci_u32 s18, s15, 0
	s_cmp_ge_u32 s17, s4
	s_cselect_b32 s17, -1, 0
	s_cmp_eq_u32 s18, 0
	s_cselect_b32 s17, s17, -1
	s_delay_alu instid0(SALU_CYCLE_1)
	s_cmp_lg_u32 s17, 0
	s_cselect_b32 s17, s24, s20
	s_cmp_ge_u32 s5, s4
	s_cselect_b32 s5, -1, 0
	s_cmp_eq_u32 s15, 0
	s_cselect_b32 s5, s5, -1
	s_delay_alu instid0(SALU_CYCLE_1)
	s_cmp_lg_u32 s5, 0
	s_cselect_b32 s20, s17, s22
	s_cbranch_execnz .LBB2_4
.LBB2_3:
	s_wait_kmcnt 0x0
	v_cvt_f32_u32_e32 v1, s4
	s_sub_co_i32 s15, 0, s4
	s_delay_alu instid0(VALU_DEP_1) | instskip(SKIP_1) | instid1(TRANS32_DEP_1)
	v_rcp_iflag_f32_e32 v1, v1
	v_nop
	v_mul_f32_e32 v1, 0x4f7ffffe, v1
	s_delay_alu instid0(VALU_DEP_1) | instskip(NEXT) | instid1(VALU_DEP_1)
	v_cvt_u32_f32_e32 v1, v1
	v_readfirstlane_b32 s5, v1
	s_mul_i32 s15, s15, s5
	s_delay_alu instid0(SALU_CYCLE_1) | instskip(NEXT) | instid1(SALU_CYCLE_1)
	s_mul_hi_u32 s15, s5, s15
	s_add_co_i32 s5, s5, s15
	s_delay_alu instid0(SALU_CYCLE_1) | instskip(NEXT) | instid1(SALU_CYCLE_1)
	s_mul_hi_u32 s5, s16, s5
	s_mul_i32 s15, s5, s4
	s_delay_alu instid0(SALU_CYCLE_1)
	s_sub_co_i32 s15, s16, s15
	s_add_co_i32 s16, s5, 1
	s_sub_co_i32 s17, s15, s4
	s_cmp_ge_u32 s15, s4
	s_cselect_b32 s5, s16, s5
	s_cselect_b32 s15, s17, s15
	s_add_co_i32 s16, s5, 1
	s_cmp_ge_u32 s15, s4
	s_cselect_b32 s20, s16, s5
.LBB2_4:
	s_wait_kmcnt 0x0
	s_mov_b64 s[4:5], src_shared_base
	s_min_u32 s4, s14, s20
	s_delay_alu instid0(SALU_CYCLE_1)
	v_dual_mov_b32 v1, 0 :: v_dual_mov_b32 v2, s4
	v_sub_nc_u32_e64 v3, s20, s14 clamp
	s_movk_i32 s4, 0x84
	s_movk_i32 s16, 0x88
	s_mov_b32 s17, s5
	flat_store_b32 v1, v2, s[4:5] scope:SCOPE_SYS
	s_wait_storecnt 0x0
	flat_store_b32 v1, v3, s[16:17] scope:SCOPE_SYS
	s_wait_storecnt 0x0
	flat_load_b32 v2, v1, s[16:17] scope:SCOPE_SYS
	s_wait_loadcnt 0x0
	s_wait_xcnt 0x0
	s_movk_i32 s16, 0x8c
	s_wait_dscnt 0x0
	flat_store_b32 v1, v2, s[16:17] scope:SCOPE_SYS
	s_wait_storecnt 0x0
	flat_load_b32 v2, v1, s[4:5] scope:SCOPE_SYS
	s_wait_loadcnt 0x0
	s_wait_xcnt 0x0
	s_movk_i32 s4, 0x90
	s_wait_dscnt 0x0
	flat_store_b32 v1, v2, s[4:5] scope:SCOPE_SYS
	s_wait_storecnt 0x0
	s_wait_xcnt 0x0
	s_movk_i32 s4, 0x80
	flat_store_b32 v1, v1, s[4:5] scope:SCOPE_SYS
	s_wait_storecnt 0x0
.LBB2_5:
	s_wait_xcnt 0x0
	s_or_b32 exec_lo, exec_lo, s11
	v_mov_b32_e32 v1, 0
	s_mov_b64 s[4:5], src_shared_base
	s_movk_i32 s4, 0x80
	s_wait_dscnt 0x0
	s_barrier_signal -1
	s_barrier_wait -1
	flat_load_b32 v1, v1, s[4:5] scope:SCOPE_SYS
	s_wait_loadcnt 0x0
	s_wait_xcnt 0x0
	s_mov_b32 s4, exec_lo
                                        ; implicit-def: $sgpr11
	s_wait_dscnt 0x0
	v_cmpx_ne_u32_e32 0, v1
	s_xor_b32 s4, exec_lo, s4
; %bb.6:
	s_bfe_u32 s5, ttmp6, 0x4000c
	s_and_b32 s11, ttmp6, 15
	s_add_co_i32 s5, s5, 1
	s_delay_alu instid0(SALU_CYCLE_1) | instskip(NEXT) | instid1(SALU_CYCLE_1)
	s_mul_i32 s5, ttmp9, s5
	s_add_co_i32 s11, s11, s5
	s_cmp_eq_u32 s3, 0
	s_cselect_b32 s11, ttmp9, s11
; %bb.7:
	s_or_saveexec_b32 s5, s4
	v_mov_b32_e32 v1, s11
	s_xor_b32 exec_lo, exec_lo, s5
	s_cbranch_execz .LBB2_20
; %bb.8:
	s_bfe_u32 s4, ttmp6, 0x4000c
	s_and_b32 s11, ttmp6, 15
	s_add_co_i32 s4, s4, 1
	v_dual_lshlrev_b32 v1, 2, v0 :: v_dual_add_nc_u32 v2, -16, v0
	s_mul_i32 s4, ttmp9, s4
	s_mov_b32 s19, 0
	s_add_co_i32 s11, s11, s4
	s_cmp_eq_u32 s3, 0
	v_dual_mov_b32 v4, 0 :: v_dual_add_nc_u32 v3, -4, v1
	s_cselect_b32 s18, ttmp9, s11
	v_dual_mov_b32 v5, 1 :: v_dual_mov_b32 v6, 0x84
	v_mov_b32_e32 v7, 0x88
	s_mov_b64 s[16:17], src_shared_base
	s_lshl_b64 s[20:21], s[18:19], 2
	s_add_nc_u64 s[22:23], s[0:1], 40
	s_wait_kmcnt 0x0
	s_add_nc_u64 s[20:21], s[6:7], s[20:21]
	s_add_co_i32 s11, s18, 1
	s_movk_i32 s24, 0x84
	s_mov_b32 s25, s17
	s_movk_i32 s26, 0x8c
	s_mov_b32 s27, s17
	s_movk_i32 s28, 0x88
	s_mov_b32 s29, s17
	s_movk_i32 s30, 0x90
	s_mov_b32 s31, s17
	s_movk_i32 s16, 0x80
	v_cmp_eq_u32_e32 vcc_lo, 16, v0
	s_branch .LBB2_10
.LBB2_9:                                ;   in Loop: Header=BB2_10 Depth=1
	s_wait_xcnt 0x0
	s_or_b32 exec_lo, exec_lo, s4
	s_wait_dscnt 0x0
	s_barrier_signal -1
	s_barrier_wait -1
	flat_load_b32 v8, v4, s[16:17] scope:SCOPE_SYS
	s_wait_loadcnt_dscnt 0x0
	v_cmp_ne_u32_e64 s3, 0, v8
	s_or_b32 s19, s3, s19
	s_delay_alu instid0(SALU_CYCLE_1)
	s_and_not1_b32 exec_lo, exec_lo, s19
	s_cbranch_execz .LBB2_19
.LBB2_10:                               ; =>This Inner Loop Header: Depth=1
	flat_load_b32 v8, v4, s[24:25] scope:SCOPE_SYS
	s_wait_loadcnt 0x0
	flat_load_b32 v9, v4, s[24:25] scope:SCOPE_SYS
	s_wait_loadcnt 0x0
	;; [unrolled: 2-line block ×5, first 2 shown]
	flat_load_b32 v13, v4, s[28:29] scope:SCOPE_SYS
	s_wait_loadcnt_dscnt 0x0
	v_dual_sub_nc_u32 v9, v9, v10 :: v_dual_sub_nc_u32 v10, v12, v13
	s_delay_alu instid0(VALU_DEP_1) | instskip(NEXT) | instid1(VALU_DEP_1)
	v_ashrrev_i32_e32 v9, 1, v9
	v_add_nc_u32_e32 v9, v0, v9
	s_delay_alu instid0(VALU_DEP_1) | instskip(NEXT) | instid1(VALU_DEP_1)
	v_dual_sub_nc_u32 v8, v8, v9 :: v_dual_ashrrev_i32 v9, 1, v10
	v_dual_mov_b32 v10, 0 :: v_dual_add_nc_u32 v8, 16, v8
	s_delay_alu instid0(VALU_DEP_2) | instskip(NEXT) | instid1(VALU_DEP_2)
	v_add3_u32 v9, v11, v2, v9
	v_cmp_gt_i32_e64 s3, s14, v8
	s_delay_alu instid0(VALU_DEP_2) | instskip(SKIP_1) | instid1(SALU_CYCLE_1)
	v_cmp_lt_i32_e64 s4, -1, v9
	s_and_b32 s3, s3, s4
	s_and_saveexec_b32 s15, s3
	s_cbranch_execz .LBB2_14
; %bb.11:                               ;   in Loop: Header=BB2_10 Depth=1
	v_cmp_gt_i32_e64 s3, s10, v9
	v_cmp_lt_i32_e64 s4, 0, v8
	v_mov_b32_e32 v10, 1
	s_and_b32 s3, s4, s3
	s_delay_alu instid0(SALU_CYCLE_1)
	s_and_saveexec_b32 s4, s3
	s_cbranch_execz .LBB2_13
; %bb.12:                               ;   in Loop: Header=BB2_10 Depth=1
	global_load_b32 v10, v8, s[12:13] offset:-4 scale_offset
	global_load_b32 v11, v9, s[8:9] scale_offset
	s_wait_loadcnt 0x0
	v_cmp_le_f32_e64 s3, v10, v11
	s_delay_alu instid0(VALU_DEP_1)
	v_cndmask_b32_e64 v10, 0, 1, s3
.LBB2_13:                               ;   in Loop: Header=BB2_10 Depth=1
	s_or_b32 exec_lo, exec_lo, s4
.LBB2_14:                               ;   in Loop: Header=BB2_10 Depth=1
	s_delay_alu instid0(SALU_CYCLE_1)
	s_or_b32 exec_lo, exec_lo, s15
	ds_store_b32 v1, v10
	s_wait_dscnt 0x0
	s_barrier_signal -1
	s_barrier_wait -1
	s_and_saveexec_b32 s4, s2
	s_cbranch_execz .LBB2_17
; %bb.15:                               ;   in Loop: Header=BB2_10 Depth=1
	ds_load_2addr_b32 v[10:11], v3 offset1:1
	s_wait_dscnt 0x0
	v_cmp_ne_u32_e64 s3, v11, v10
	s_and_b32 exec_lo, exec_lo, s3
	s_cbranch_execz .LBB2_17
; %bb.16:                               ;   in Loop: Header=BB2_10 Depth=1
	flat_store_b32 v4, v5, s[16:17] scope:SCOPE_SYS
	s_wait_storecnt 0x0
	s_load_b32 s3, s[22:23], 0x0
	s_wait_kmcnt 0x0
	s_add_co_i32 s3, s11, s3
	s_delay_alu instid0(SALU_CYCLE_1)
	v_mov_b32_e32 v10, s3
	s_clause 0x1
	global_store_b32 v4, v8, s[20:21]
	global_store_b32 v10, v9, s[6:7] scale_offset
.LBB2_17:                               ;   in Loop: Header=BB2_10 Depth=1
	s_wait_xcnt 0x0
	s_or_b32 exec_lo, exec_lo, s4
	s_wait_storecnt_dscnt 0x0
	s_barrier_signal -1
	s_barrier_wait -1
	s_and_saveexec_b32 s4, vcc_lo
	s_cbranch_execz .LBB2_9
; %bb.18:                               ;   in Loop: Header=BB2_10 Depth=1
	ds_load_b32 v10, v4 offset:124
	v_dual_mov_b32 v11, s17 :: v_dual_mov_b32 v13, s17
	s_wait_dscnt 0x0
	v_cmp_eq_u32_e64 s3, 0, v10
	s_delay_alu instid0(VALU_DEP_1)
	v_cndmask_b32_e64 v10, 0x8c, v6, s3
	v_cndmask_b32_e64 v12, 0x90, v7, s3
	flat_store_b32 v[10:11], v8 scope:SCOPE_SYS
	s_wait_storecnt 0x0
	flat_store_b32 v[12:13], v9 scope:SCOPE_SYS
	s_wait_storecnt 0x0
	s_branch .LBB2_9
.LBB2_19:
	s_or_b32 exec_lo, exec_lo, s19
	v_mov_b32_e32 v1, s18
.LBB2_20:
	s_or_b32 exec_lo, exec_lo, s5
	s_delay_alu instid0(VALU_DEP_1) | instskip(SKIP_1) | instid1(VALU_DEP_1)
	v_or_b32_e32 v0, v0, v1
	s_mov_b32 s2, exec_lo
	v_cmpx_eq_u32_e32 0, v0
	s_cbranch_execz .LBB2_22
; %bb.21:
	s_load_b32 s0, s[0:1], 0x28
	s_wait_kmcnt 0x0
	v_dual_mov_b32 v0, 0 :: v_dual_mov_b32 v1, s14
	s_add_co_i32 s1, s0, 1
	s_delay_alu instid0(SALU_CYCLE_1) | instskip(SKIP_1) | instid1(SALU_CYCLE_1)
	v_dual_mov_b32 v2, s10 :: v_dual_mov_b32 v3, s1
	s_lshl_b32 s2, s0, 1
	v_dual_mov_b32 v4, s0 :: v_dual_mov_b32 v5, s2
	s_clause 0x3
	global_store_b32 v0, v0, s[6:7]
	global_store_b32 v3, v0, s[6:7] scale_offset
	global_store_b32 v4, v1, s[6:7] scale_offset
	global_store_b32 v5, v2, s[6:7] offset:4 scale_offset
.LBB2_22:
	s_endpgm
.LBB2_23:
                                        ; implicit-def: $sgpr20_sgpr21
	s_branch .LBB2_3
	.section	.rodata,"a",@progbits
	.p2align	6, 0x0
	.amdhsa_kernel _Z17workloadDiagonalsIfEvPKT_jS2_jPj
		.amdhsa_group_segment_fixed_size 148
		.amdhsa_private_segment_fixed_size 0
		.amdhsa_kernarg_size 296
		.amdhsa_user_sgpr_count 2
		.amdhsa_user_sgpr_dispatch_ptr 0
		.amdhsa_user_sgpr_queue_ptr 0
		.amdhsa_user_sgpr_kernarg_segment_ptr 1
		.amdhsa_user_sgpr_dispatch_id 0
		.amdhsa_user_sgpr_kernarg_preload_length 0
		.amdhsa_user_sgpr_kernarg_preload_offset 0
		.amdhsa_user_sgpr_private_segment_size 0
		.amdhsa_wavefront_size32 1
		.amdhsa_uses_dynamic_stack 0
		.amdhsa_enable_private_segment 0
		.amdhsa_system_sgpr_workgroup_id_x 1
		.amdhsa_system_sgpr_workgroup_id_y 0
		.amdhsa_system_sgpr_workgroup_id_z 0
		.amdhsa_system_sgpr_workgroup_info 0
		.amdhsa_system_vgpr_workitem_id 0
		.amdhsa_next_free_vgpr 14
		.amdhsa_next_free_sgpr 32
		.amdhsa_named_barrier_count 0
		.amdhsa_reserve_vcc 1
		.amdhsa_float_round_mode_32 0
		.amdhsa_float_round_mode_16_64 0
		.amdhsa_float_denorm_mode_32 3
		.amdhsa_float_denorm_mode_16_64 3
		.amdhsa_fp16_overflow 0
		.amdhsa_memory_ordered 1
		.amdhsa_forward_progress 1
		.amdhsa_inst_pref_size 15
		.amdhsa_round_robin_scheduling 0
		.amdhsa_exception_fp_ieee_invalid_op 0
		.amdhsa_exception_fp_denorm_src 0
		.amdhsa_exception_fp_ieee_div_zero 0
		.amdhsa_exception_fp_ieee_overflow 0
		.amdhsa_exception_fp_ieee_underflow 0
		.amdhsa_exception_fp_ieee_inexact 0
		.amdhsa_exception_int_div_zero 0
	.end_amdhsa_kernel
	.section	.text._Z17workloadDiagonalsIfEvPKT_jS2_jPj,"axG",@progbits,_Z17workloadDiagonalsIfEvPKT_jS2_jPj,comdat
.Lfunc_end2:
	.size	_Z17workloadDiagonalsIfEvPKT_jS2_jPj, .Lfunc_end2-_Z17workloadDiagonalsIfEvPKT_jS2_jPj
                                        ; -- End function
	.set _Z17workloadDiagonalsIfEvPKT_jS2_jPj.num_vgpr, 14
	.set _Z17workloadDiagonalsIfEvPKT_jS2_jPj.num_agpr, 0
	.set _Z17workloadDiagonalsIfEvPKT_jS2_jPj.numbered_sgpr, 32
	.set _Z17workloadDiagonalsIfEvPKT_jS2_jPj.num_named_barrier, 0
	.set _Z17workloadDiagonalsIfEvPKT_jS2_jPj.private_seg_size, 0
	.set _Z17workloadDiagonalsIfEvPKT_jS2_jPj.uses_vcc, 1
	.set _Z17workloadDiagonalsIfEvPKT_jS2_jPj.uses_flat_scratch, 0
	.set _Z17workloadDiagonalsIfEvPKT_jS2_jPj.has_dyn_sized_stack, 0
	.set _Z17workloadDiagonalsIfEvPKT_jS2_jPj.has_recursion, 0
	.set _Z17workloadDiagonalsIfEvPKT_jS2_jPj.has_indirect_call, 0
	.section	.AMDGPU.csdata,"",@progbits
; Kernel info:
; codeLenInByte = 1868
; TotalNumSgprs: 34
; NumVgprs: 14
; ScratchSize: 0
; MemoryBound: 0
; FloatMode: 240
; IeeeMode: 1
; LDSByteSize: 148 bytes/workgroup (compile time only)
; SGPRBlocks: 0
; VGPRBlocks: 0
; NumSGPRsForWavesPerEU: 34
; NumVGPRsForWavesPerEU: 14
; NamedBarCnt: 0
; Occupancy: 16
; WaveLimiterHint : 1
; COMPUTE_PGM_RSRC2:SCRATCH_EN: 0
; COMPUTE_PGM_RSRC2:USER_SGPR: 2
; COMPUTE_PGM_RSRC2:TRAP_HANDLER: 0
; COMPUTE_PGM_RSRC2:TGID_X_EN: 1
; COMPUTE_PGM_RSRC2:TGID_Y_EN: 0
; COMPUTE_PGM_RSRC2:TGID_Z_EN: 0
; COMPUTE_PGM_RSRC2:TIDIG_COMP_CNT: 0
	.section	.text._Z15mergeSinglePathIfLb0ELb0EEvPKT_jS2_jPKjPS0_j,"axG",@progbits,_Z15mergeSinglePathIfLb0ELb0EEvPKT_jS2_jPKjPS0_j,comdat
	.protected	_Z15mergeSinglePathIfLb0ELb0EEvPKT_jS2_jPKjPS0_j ; -- Begin function _Z15mergeSinglePathIfLb0ELb0EEvPKT_jS2_jPKjPS0_j
	.globl	_Z15mergeSinglePathIfLb0ELb0EEvPKT_jS2_jPKjPS0_j
	.p2align	8
	.type	_Z15mergeSinglePathIfLb0ELb0EEvPKT_jS2_jPKjPS0_j,@function
_Z15mergeSinglePathIfLb0ELb0EEvPKT_jS2_jPKjPS0_j: ; @_Z15mergeSinglePathIfLb0ELb0EEvPKT_jS2_jPKjPS0_j
; %bb.0:
	s_clause 0x2
	s_load_b64 s[8:9], s[0:1], 0x0
	s_load_b64 s[10:11], s[0:1], 0x10
	s_load_b128 s[4:7], s[0:1], 0x20
	v_alignbit_b32 v1, v0, v0, 5
	s_mov_b32 s2, exec_lo
	s_delay_alu instid0(VALU_DEP_1)
	v_cmpx_lt_i32_e32 1, v1
	s_xor_b32 s2, exec_lo, s2
	s_cbranch_execz .LBB3_8
; %bb.1:
	s_mov_b32 s3, exec_lo
	v_cmpx_lt_i32_e32 2, v1
	s_xor_b32 s3, exec_lo, s3
	s_cbranch_execz .LBB3_5
; %bb.2:
	s_mov_b32 s12, exec_lo
	v_cmpx_eq_u32_e32 3, v1
	s_cbranch_execz .LBB3_4
; %bb.3:
	s_load_b32 s13, s[0:1], 0x38
	s_mov_b64 s[14:15], src_shared_base
	s_bfe_u32 s14, ttmp6, 0x4000c
	s_and_b32 s16, ttmp6, 15
	s_add_co_i32 s14, s14, 1
	s_getreg_b32 s17, hwreg(HW_REG_IB_STS2, 6, 4)
	s_mul_i32 s14, ttmp9, s14
	v_mov_b32_e32 v3, 0x7f7fffff
	s_add_co_i32 s16, s16, s14
	s_cmp_eq_u32 s17, 0
	s_cselect_b32 s14, ttmp9, s16
	s_wait_kmcnt 0x0
	s_add_co_i32 s13, s14, s13
	s_movk_i32 s14, 0x101c
	s_add_co_i32 s13, s13, 2
	s_load_b32 s13, s[4:5], s13 offset:0x0 scale_offset
	s_wait_kmcnt 0x0
	v_dual_mov_b32 v1, 0 :: v_dual_mov_b32 v2, s13
	flat_store_b32 v1, v2, s[14:15] scope:SCOPE_SYS
	s_wait_storecnt 0x0
	ds_store_b32 v1, v3 offset:4108
.LBB3_4:
	s_wait_xcnt 0x0
	s_or_b32 exec_lo, exec_lo, s12
.LBB3_5:
	s_and_not1_saveexec_b32 s3, s3
	s_cbranch_execz .LBB3_7
; %bb.6:
	s_mov_b64 s[12:13], src_shared_base
	s_load_b32 s12, s[0:1], 0x38
	s_bfe_u32 s14, ttmp6, 0x4000c
	s_and_b32 s15, ttmp6, 15
	s_add_co_i32 s14, s14, 1
	s_getreg_b32 s16, hwreg(HW_REG_IB_STS2, 6, 4)
	s_mul_i32 s14, ttmp9, s14
	v_mov_b32_e32 v3, 0x7f7fffff
	s_add_co_i32 s15, s15, s14
	s_cmp_eq_u32 s16, 0
	s_cselect_b32 s14, ttmp9, s15
	s_wait_kmcnt 0x0
	s_add_co_i32 s12, s14, s12
	s_delay_alu instid0(SALU_CYCLE_1)
	s_add_co_i32 s12, s12, 1
	s_load_b32 s12, s[4:5], s12 offset:0x0 scale_offset
	s_wait_kmcnt 0x0
	v_dual_mov_b32 v1, 0 :: v_dual_mov_b32 v2, s12
	s_movk_i32 s12, 0x1014
	flat_store_b32 v1, v2, s[12:13] scope:SCOPE_SYS
	s_wait_storecnt 0x0
	ds_store_b32 v1, v3 offset:2052
.LBB3_7:
	s_wait_xcnt 0x0
	s_or_b32 exec_lo, exec_lo, s3
                                        ; implicit-def: $vgpr1
.LBB3_8:
	s_and_not1_saveexec_b32 s2, s2
	s_cbranch_execz .LBB3_16
; %bb.9:
	s_mov_b32 s3, exec_lo
	v_cmpx_lt_i32_e32 0, v1
	s_xor_b32 s3, exec_lo, s3
	s_cbranch_execz .LBB3_11
; %bb.10:
	s_mov_b64 s[12:13], src_shared_base
	s_bfe_u32 s12, ttmp6, 0x4000c
	s_and_b32 s14, ttmp6, 15
	s_add_co_i32 s12, s12, 1
	s_getreg_b32 s15, hwreg(HW_REG_IB_STS2, 6, 4)
	s_mul_i32 s12, ttmp9, s12
	v_mov_b32_e32 v3, 0x800000
	s_add_co_i32 s14, s14, s12
	s_cmp_eq_u32 s15, 0
	s_cselect_b32 s12, ttmp9, s14
	s_delay_alu instid0(SALU_CYCLE_1)
	s_add_co_i32 s12, s12, 1
	s_wait_kmcnt 0x0
	s_load_b32 s12, s[4:5], s12 offset:0x0 scale_offset
	s_wait_kmcnt 0x0
	v_dual_mov_b32 v1, 0 :: v_dual_mov_b32 v2, s12
	s_movk_i32 s12, 0x1018
	flat_store_b32 v1, v2, s[12:13] scope:SCOPE_SYS
	s_wait_storecnt 0x0
	ds_store_b32 v1, v3 offset:2056
                                        ; implicit-def: $vgpr1
.LBB3_11:
	s_wait_xcnt 0x0
	s_and_not1_saveexec_b32 s3, s3
	s_cbranch_execz .LBB3_15
; %bb.12:
	s_mov_b32 s12, exec_lo
	v_cmpx_eq_u32_e32 0, v1
	s_cbranch_execz .LBB3_14
; %bb.13:
	s_bfe_u32 s13, ttmp6, 0x4000c
	s_mov_b64 s[14:15], src_shared_base
	s_add_co_i32 s13, s13, 1
	s_and_b32 s14, ttmp6, 15
	s_mul_i32 s13, ttmp9, s13
	s_getreg_b32 s16, hwreg(HW_REG_IB_STS2, 6, 4)
	s_add_co_i32 s14, s14, s13
	s_cmp_eq_u32 s16, 0
	v_mov_b32_e32 v3, 0x800000
	s_cselect_b32 s13, ttmp9, s14
	s_movk_i32 s14, 0x1010
	s_wait_kmcnt 0x0
	s_load_b32 s4, s[4:5], s13 offset:0x0 scale_offset
	s_wait_kmcnt 0x0
	v_dual_mov_b32 v1, 0 :: v_dual_mov_b32 v2, s4
	flat_store_b32 v1, v2, s[14:15] scope:SCOPE_SYS
	s_wait_storecnt 0x0
	ds_store_b32 v1, v3
.LBB3_14:
	s_wait_xcnt 0x0
	s_or_b32 exec_lo, exec_lo, s12
.LBB3_15:
	s_delay_alu instid0(SALU_CYCLE_1)
	s_or_b32 exec_lo, exec_lo, s3
.LBB3_16:
	s_delay_alu instid0(SALU_CYCLE_1)
	s_or_b32 exec_lo, exec_lo, s2
	v_dual_lshlrev_b32 v2, 2, v0 :: v_dual_lshlrev_b32 v14, 1, v0
	v_mov_b32_e32 v1, 0
	s_mov_b64 s[2:3], src_shared_base
	s_wait_kmcnt 0x0
	s_add_nc_u64 s[4:5], s[0:1], 56
	v_or_b32_e32 v15, 2, v2
	v_dual_mov_b32 v3, v1 :: v_dual_bitop2_b32 v16, 1, v14 bitop3:0x54
	v_mad_u32_u24 v17, v0, 12, v2
	v_lshlrev_b32_e32 v8, 2, v2
	s_mov_b32 s1, 0
	s_movk_i32 s2, 0x1014
	v_add_nc_u64_e32 v[4:5], s[8:9], v[2:3]
	v_add_nc_u64_e32 v[6:7], s[10:11], v[2:3]
	s_movk_i32 s8, 0x1010
	s_mov_b32 s9, s3
	s_movk_i32 s10, 0x1018
	s_mov_b32 s11, s3
	;; [unrolled: 2-line block ×3, first 2 shown]
	s_wait_dscnt 0x0
	s_barrier_signal -1
	s_barrier_wait -1
	v_cmp_eq_u32_e32 vcc_lo, 0x7f, v0
	s_branch .LBB3_19
.LBB3_17:                               ;   in Loop: Header=BB3_19 Depth=1
	s_wait_xcnt 0x0
	s_or_b32 exec_lo, exec_lo, s0
	s_delay_alu instid0(SALU_CYCLE_1)
	s_xor_b32 s0, exec_lo, -1
	s_wait_storecnt_dscnt 0x0
	s_barrier_signal -1
	s_barrier_wait -1
.LBB3_18:                               ;   in Loop: Header=BB3_19 Depth=1
	s_or_b32 exec_lo, exec_lo, s13
	s_delay_alu instid0(SALU_CYCLE_1) | instskip(NEXT) | instid1(SALU_CYCLE_1)
	s_and_b32 s0, exec_lo, s0
	s_or_b32 s14, s0, s14
	s_delay_alu instid0(SALU_CYCLE_1)
	s_and_not1_b32 exec_lo, exec_lo, s14
	s_cbranch_execz .LBB3_43
.LBB3_19:                               ; =>This Loop Header: Depth=1
                                        ;     Child Loop BB3_24 Depth 2
	flat_load_b32 v0, v1, s[8:9] scope:SCOPE_SYS
	s_wait_loadcnt 0x0
	flat_load_b32 v3, v1, s[10:11] scope:SCOPE_SYS
	s_wait_loadcnt 0x0
	s_mov_b32 s16, -1
	s_mov_b32 s15, exec_lo
	s_wait_dscnt 0x0
	s_wait_xcnt 0x0
	v_cmpx_ge_u32_e64 v0, v3
	s_cbranch_execz .LBB3_21
; %bb.20:                               ;   in Loop: Header=BB3_19 Depth=1
	s_mov_b32 s13, s3
	flat_load_b32 v0, v1, s[2:3] scope:SCOPE_SYS
	s_wait_loadcnt 0x0
	flat_load_b32 v3, v1, s[12:13] scope:SCOPE_SYS
	s_wait_loadcnt_dscnt 0x0
	v_cmp_lt_u32_e64 s0, v0, v3
	s_or_not1_b32 s16, s0, exec_lo
.LBB3_21:                               ;   in Loop: Header=BB3_19 Depth=1
	s_or_b32 exec_lo, exec_lo, s15
	s_mov_b32 s0, -1
	s_and_saveexec_b32 s13, s16
	s_cbranch_execz .LBB3_18
; %bb.22:                               ;   in Loop: Header=BB3_19 Depth=1
	flat_load_b32 v0, v1, s[8:9] scope:SCOPE_SYS
	s_wait_loadcnt 0x0
	flat_load_b32 v10, v1, s[2:3] scope:SCOPE_SYS
	s_wait_loadcnt 0x0
	s_load_b32 s0, s[4:5], 0xc
	s_mov_b32 s15, 0
	s_mov_b32 s16, 0
                                        ; implicit-def: $sgpr17
	s_wait_kmcnt 0x0
	s_and_b32 s0, s0, 0xffff
	s_delay_alu instid0(SALU_CYCLE_1) | instskip(SKIP_4) | instid1(VALU_DEP_2)
	s_lshl_b32 s0, s0, 2
	v_mov_b32_e32 v11, v1
	s_wait_dscnt 0x1
	v_lshl_add_u64 v[12:13], v[0:1], 2, v[4:5]
	s_wait_dscnt 0x0
	v_lshl_add_u64 v[10:11], v[10:11], 2, v[6:7]
	s_delay_alu instid0(VALU_DEP_2) | instskip(NEXT) | instid1(VALU_DEP_2)
	v_add_nc_u64_e32 v[18:19], s[0:1], v[12:13]
	v_add_nc_u64_e32 v[20:21], s[0:1], v[10:11]
	global_load_b32 v0, v[12:13], off
	v_add_nc_u64_e32 v[22:23], s[0:1], v[18:19]
	v_add_nc_u64_e32 v[24:25], s[0:1], v[20:21]
	s_wait_xcnt 0x0
	s_delay_alu instid0(VALU_DEP_2) | instskip(NEXT) | instid1(VALU_DEP_2)
	v_add_nc_u64_e32 v[12:13], s[0:1], v[22:23]
	v_add_nc_u64_e32 v[26:27], s[0:1], v[24:25]
	global_load_b32 v3, v[10:11], off
	global_load_b32 v9, v[18:19], off
	global_load_b32 v28, v[20:21], off
	global_load_b32 v29, v[22:23], off
	global_load_b32 v30, v[24:25], off
	global_load_b32 v31, v[12:13], off
	global_load_b32 v32, v[26:27], off
	s_wait_xcnt 0x1
	v_dual_mov_b32 v13, v16 :: v_dual_add_nc_u32 v10, s0, v2
	s_delay_alu instid0(VALU_DEP_1) | instskip(NEXT) | instid1(VALU_DEP_1)
	v_add_nc_u32_e32 v11, s0, v10
	v_add_nc_u32_e32 v12, s0, v11
	s_wait_loadcnt 0x7
	ds_store_b32 v2, v0 offset:4
	s_wait_loadcnt 0x6
	ds_store_b32 v2, v3 offset:2060
	;; [unrolled: 2-line block ×8, first 2 shown]
	flat_load_b32 v0, v1, s[8:9] scope:SCOPE_SYS
	s_wait_loadcnt 0x0
	flat_load_b32 v10, v1, s[2:3] scope:SCOPE_SYS
	s_wait_loadcnt 0x0
	v_mov_b32_e32 v3, v14
	s_wait_dscnt 0x0
	s_barrier_signal -1
	s_barrier_wait -1
	s_branch .LBB3_24
.LBB3_23:                               ;   in Loop: Header=BB3_24 Depth=2
	s_or_b32 exec_lo, exec_lo, s17
	s_delay_alu instid0(SALU_CYCLE_1) | instskip(SKIP_2) | instid1(SALU_CYCLE_1)
	s_and_b32 s0, exec_lo, s16
	s_mov_b32 s16, 0
	s_or_b32 s15, s0, s15
                                        ; implicit-def: $sgpr17
	s_and_not1_b32 exec_lo, exec_lo, s15
	s_cbranch_execz .LBB3_29
.LBB3_24:                               ;   Parent Loop BB3_19 Depth=1
                                        ; =>  This Inner Loop Header: Depth=2
	v_dual_mov_b32 v9, v13 :: v_dual_add_nc_u32 v3, 1, v3
	s_or_b32 s17, s17, exec_lo
	s_delay_alu instid0(VALU_DEP_1) | instskip(NEXT) | instid1(VALU_DEP_2)
	v_not_b32_e32 v12, v9
	v_dual_lshlrev_b32 v11, 2, v9 :: v_dual_lshrrev_b32 v3, 1, v3
	s_delay_alu instid0(VALU_DEP_2)
	v_lshl_add_u32 v18, v12, 2, v17
	ds_load_b32 v12, v11
	ds_load_b32 v13, v18 offset:2064
	s_wait_dscnt 0x0
	v_cmp_ngt_f32_e64 s0, v12, v13
                                        ; implicit-def: $vgpr13
	s_wait_xcnt 0x0
	s_and_saveexec_b32 s18, s0
; %bb.25:                               ;   in Loop: Header=BB3_24 Depth=2
	v_add_nc_u32_e32 v13, v3, v9
	s_and_not1_b32 s17, s17, exec_lo
; %bb.26:                               ;   in Loop: Header=BB3_24 Depth=2
	s_or_b32 exec_lo, exec_lo, s18
	s_delay_alu instid0(SALU_CYCLE_1) | instskip(NEXT) | instid1(SALU_CYCLE_1)
	s_and_b32 s0, exec_lo, s17
	s_or_b32 s16, s0, s16
	s_delay_alu instid0(SALU_CYCLE_1)
	s_and_not1_b32 exec_lo, exec_lo, s16
	s_cbranch_execnz .LBB3_24
; %bb.27:                               ;   in Loop: Header=BB3_24 Depth=2
	s_or_b32 exec_lo, exec_lo, s16
	v_add_nc_u32_e32 v13, -4, v11
	s_mov_b32 s16, -1
	ds_load_b32 v13, v13
	ds_load_b32 v18, v18 offset:2068
	s_wait_dscnt 0x0
	v_cmp_nle_f32_e64 s0, v13, v18
                                        ; implicit-def: $vgpr13
	s_and_saveexec_b32 s17, s0
	s_cbranch_execz .LBB3_23
; %bb.28:                               ;   in Loop: Header=BB3_24 Depth=2
	v_sub_nc_u32_e32 v13, v9, v3
	s_xor_b32 s16, exec_lo, -1
	s_branch .LBB3_23
.LBB3_29:                               ;   in Loop: Header=BB3_19 Depth=1
	s_or_b32 exec_lo, exec_lo, s15
	v_sub_nc_u32_e32 v3, v2, v9
                                        ; implicit-def: $vgpr13
                                        ; implicit-def: $vgpr18
	s_delay_alu instid0(VALU_DEP_1) | instskip(SKIP_4) | instid1(SALU_CYCLE_1)
	v_lshlrev_b32_e32 v21, 2, v3
	ds_load_b32 v20, v21 offset:2064
	s_wait_dscnt 0x0
	v_cmp_ngt_f32_e64 s0, v12, v20
	s_and_saveexec_b32 s15, s0
	s_xor_b32 s0, exec_lo, s15
; %bb.30:                               ;   in Loop: Header=BB3_19 Depth=1
	ds_load_b32 v13, v11 offset:4
	v_add_nc_u32_e32 v18, 1, v9
                                        ; implicit-def: $vgpr21
; %bb.31:                               ;   in Loop: Header=BB3_19 Depth=1
	s_or_saveexec_b32 s0, s0
	v_dual_sub_nc_u32 v3, v15, v9 :: v_dual_mov_b32 v19, v20
	s_xor_b32 exec_lo, exec_lo, s0
	s_cbranch_execz .LBB3_33
; %bb.32:                               ;   in Loop: Header=BB3_19 Depth=1
	ds_load_b32 v19, v21 offset:2068
	v_dual_mov_b32 v18, v9 :: v_dual_add_nc_u32 v3, 1, v3
	s_wait_dscnt 0x1
	v_dual_mov_b32 v13, v12 :: v_dual_mov_b32 v12, v20
.LBB3_33:                               ;   in Loop: Header=BB3_19 Depth=1
	s_or_b32 exec_lo, exec_lo, s0
	v_dual_mov_b32 v11, v1 :: v_dual_mov_b32 v9, v1
	v_lshl_add_u64 v[20:21], v[0:1], 2, s[6:7]
	s_wait_dscnt 0x0
	v_cmp_ngt_f32_e64 s0, v13, v19
                                        ; implicit-def: $vgpr0
	s_delay_alu instid0(VALU_DEP_2) | instskip(NEXT) | instid1(VALU_DEP_1)
	v_lshl_add_u64 v[10:11], v[10:11], 2, v[20:21]
	v_add_nc_u64_e32 v[10:11], v[10:11], v[8:9]
	global_store_b32 v[10:11], v12, off
                                        ; implicit-def: $vgpr12
	s_wait_xcnt 0x0
	s_and_saveexec_b32 s15, s0
	s_delay_alu instid0(SALU_CYCLE_1)
	s_xor_b32 s0, exec_lo, s15
; %bb.34:                               ;   in Loop: Header=BB3_19 Depth=1
	v_lshlrev_b32_e32 v0, 2, v18
	ds_load_b32 v12, v0 offset:4
	v_add_nc_u32_e32 v0, 1, v18
                                        ; implicit-def: $vgpr18
; %bb.35:                               ;   in Loop: Header=BB3_19 Depth=1
	s_or_saveexec_b32 s0, s0
	v_mov_b32_e32 v9, v19
	s_xor_b32 exec_lo, exec_lo, s0
	s_cbranch_execz .LBB3_37
; %bb.36:                               ;   in Loop: Header=BB3_19 Depth=1
	v_dual_lshlrev_b32 v0, 2, v3 :: v_dual_add_nc_u32 v3, 1, v3
	s_wait_dscnt 0x0
	v_dual_mov_b32 v12, v13 :: v_dual_mov_b32 v13, v19
	ds_load_b32 v9, v0 offset:2060
	v_mov_b32_e32 v0, v18
.LBB3_37:                               ;   in Loop: Header=BB3_19 Depth=1
	s_or_b32 exec_lo, exec_lo, s0
	s_wait_dscnt 0x0
	v_cmp_ngt_f32_e64 s0, v12, v9
	global_store_b32 v[10:11], v13, off offset:4
                                        ; implicit-def: $vgpr13
	s_wait_xcnt 0x0
	s_and_saveexec_b32 s15, s0
	s_delay_alu instid0(SALU_CYCLE_1)
	s_xor_b32 s0, exec_lo, s15
; %bb.38:                               ;   in Loop: Header=BB3_19 Depth=1
	v_dual_lshlrev_b32 v13, 2, v0 :: v_dual_add_nc_u32 v3, -1, v3
	ds_load_b32 v13, v13 offset:4
; %bb.39:                               ;   in Loop: Header=BB3_19 Depth=1
	s_or_saveexec_b32 s0, s0
	v_mov_b32_e32 v18, v9
	s_xor_b32 exec_lo, exec_lo, s0
	s_cbranch_execz .LBB3_41
; %bb.40:                               ;   in Loop: Header=BB3_19 Depth=1
	s_wait_dscnt 0x0
	v_dual_lshlrev_b32 v13, 2, v3 :: v_dual_add_nc_u32 v0, -1, v0
	ds_load_b32 v18, v13 offset:2060
	v_dual_mov_b32 v13, v12 :: v_dual_mov_b32 v12, v9
.LBB3_41:                               ;   in Loop: Header=BB3_19 Depth=1
	s_or_b32 exec_lo, exec_lo, s0
	s_wait_dscnt 0x0
	s_delay_alu instid0(VALU_DEP_1) | instskip(NEXT) | instid1(VALU_DEP_1)
	v_cmp_gt_f32_e64 s0, v13, v18
	v_cndmask_b32_e64 v13, v13, v18, s0
	global_store_b64 v[10:11], v[12:13], off offset:8
	s_wait_xcnt 0x0
	s_and_saveexec_b32 s0, vcc_lo
	s_cbranch_execz .LBB3_17
; %bb.42:                               ;   in Loop: Header=BB3_19 Depth=1
	flat_load_b32 v9, v1, s[8:9] scope:SCOPE_SYS
	s_wait_loadcnt_dscnt 0x0
	v_add_nc_u32_e32 v0, v9, v0
	flat_store_b32 v1, v0, s[8:9] scope:SCOPE_SYS
	s_wait_storecnt 0x0
	flat_load_b32 v0, v1, s[2:3] scope:SCOPE_SYS
	s_wait_loadcnt_dscnt 0x0
	v_add_nc_u32_e32 v0, v0, v3
	flat_store_b32 v1, v0, s[2:3] scope:SCOPE_SYS
	s_wait_storecnt 0x0
	s_branch .LBB3_17
.LBB3_43:
	s_endpgm
	.section	.rodata,"a",@progbits
	.p2align	6, 0x0
	.amdhsa_kernel _Z15mergeSinglePathIfLb0ELb0EEvPKT_jS2_jPKjPS0_j
		.amdhsa_group_segment_fixed_size 4128
		.amdhsa_private_segment_fixed_size 0
		.amdhsa_kernarg_size 312
		.amdhsa_user_sgpr_count 2
		.amdhsa_user_sgpr_dispatch_ptr 0
		.amdhsa_user_sgpr_queue_ptr 0
		.amdhsa_user_sgpr_kernarg_segment_ptr 1
		.amdhsa_user_sgpr_dispatch_id 0
		.amdhsa_user_sgpr_kernarg_preload_length 0
		.amdhsa_user_sgpr_kernarg_preload_offset 0
		.amdhsa_user_sgpr_private_segment_size 0
		.amdhsa_wavefront_size32 1
		.amdhsa_uses_dynamic_stack 0
		.amdhsa_enable_private_segment 0
		.amdhsa_system_sgpr_workgroup_id_x 1
		.amdhsa_system_sgpr_workgroup_id_y 0
		.amdhsa_system_sgpr_workgroup_id_z 0
		.amdhsa_system_sgpr_workgroup_info 0
		.amdhsa_system_vgpr_workitem_id 0
		.amdhsa_next_free_vgpr 33
		.amdhsa_next_free_sgpr 19
		.amdhsa_named_barrier_count 0
		.amdhsa_reserve_vcc 1
		.amdhsa_float_round_mode_32 0
		.amdhsa_float_round_mode_16_64 0
		.amdhsa_float_denorm_mode_32 3
		.amdhsa_float_denorm_mode_16_64 3
		.amdhsa_fp16_overflow 0
		.amdhsa_memory_ordered 1
		.amdhsa_forward_progress 1
		.amdhsa_inst_pref_size 16
		.amdhsa_round_robin_scheduling 0
		.amdhsa_exception_fp_ieee_invalid_op 0
		.amdhsa_exception_fp_denorm_src 0
		.amdhsa_exception_fp_ieee_div_zero 0
		.amdhsa_exception_fp_ieee_overflow 0
		.amdhsa_exception_fp_ieee_underflow 0
		.amdhsa_exception_fp_ieee_inexact 0
		.amdhsa_exception_int_div_zero 0
	.end_amdhsa_kernel
	.section	.text._Z15mergeSinglePathIfLb0ELb0EEvPKT_jS2_jPKjPS0_j,"axG",@progbits,_Z15mergeSinglePathIfLb0ELb0EEvPKT_jS2_jPKjPS0_j,comdat
.Lfunc_end3:
	.size	_Z15mergeSinglePathIfLb0ELb0EEvPKT_jS2_jPKjPS0_j, .Lfunc_end3-_Z15mergeSinglePathIfLb0ELb0EEvPKT_jS2_jPKjPS0_j
                                        ; -- End function
	.set _Z15mergeSinglePathIfLb0ELb0EEvPKT_jS2_jPKjPS0_j.num_vgpr, 33
	.set _Z15mergeSinglePathIfLb0ELb0EEvPKT_jS2_jPKjPS0_j.num_agpr, 0
	.set _Z15mergeSinglePathIfLb0ELb0EEvPKT_jS2_jPKjPS0_j.numbered_sgpr, 19
	.set _Z15mergeSinglePathIfLb0ELb0EEvPKT_jS2_jPKjPS0_j.num_named_barrier, 0
	.set _Z15mergeSinglePathIfLb0ELb0EEvPKT_jS2_jPKjPS0_j.private_seg_size, 0
	.set _Z15mergeSinglePathIfLb0ELb0EEvPKT_jS2_jPKjPS0_j.uses_vcc, 1
	.set _Z15mergeSinglePathIfLb0ELb0EEvPKT_jS2_jPKjPS0_j.uses_flat_scratch, 0
	.set _Z15mergeSinglePathIfLb0ELb0EEvPKT_jS2_jPKjPS0_j.has_dyn_sized_stack, 0
	.set _Z15mergeSinglePathIfLb0ELb0EEvPKT_jS2_jPKjPS0_j.has_recursion, 0
	.set _Z15mergeSinglePathIfLb0ELb0EEvPKT_jS2_jPKjPS0_j.has_indirect_call, 0
	.section	.AMDGPU.csdata,"",@progbits
; Kernel info:
; codeLenInByte = 2032
; TotalNumSgprs: 21
; NumVgprs: 33
; ScratchSize: 0
; MemoryBound: 0
; FloatMode: 240
; IeeeMode: 1
; LDSByteSize: 4128 bytes/workgroup (compile time only)
; SGPRBlocks: 0
; VGPRBlocks: 2
; NumSGPRsForWavesPerEU: 21
; NumVGPRsForWavesPerEU: 33
; NamedBarCnt: 0
; Occupancy: 16
; WaveLimiterHint : 1
; COMPUTE_PGM_RSRC2:SCRATCH_EN: 0
; COMPUTE_PGM_RSRC2:USER_SGPR: 2
; COMPUTE_PGM_RSRC2:TRAP_HANDLER: 0
; COMPUTE_PGM_RSRC2:TGID_X_EN: 1
; COMPUTE_PGM_RSRC2:TGID_Y_EN: 0
; COMPUTE_PGM_RSRC2:TGID_Z_EN: 0
; COMPUTE_PGM_RSRC2:TIDIG_COMP_CNT: 0
	.section	.text._Z17workloadDiagonalsImEvPKT_jS2_jPj,"axG",@progbits,_Z17workloadDiagonalsImEvPKT_jS2_jPj,comdat
	.protected	_Z17workloadDiagonalsImEvPKT_jS2_jPj ; -- Begin function _Z17workloadDiagonalsImEvPKT_jS2_jPj
	.globl	_Z17workloadDiagonalsImEvPKT_jS2_jPj
	.p2align	8
	.type	_Z17workloadDiagonalsImEvPKT_jS2_jPj,@function
_Z17workloadDiagonalsImEvPKT_jS2_jPj:   ; @_Z17workloadDiagonalsImEvPKT_jS2_jPj
; %bb.0:
	s_clause 0x2
	s_load_b96 s[12:14], s[0:1], 0x0
	s_load_b96 s[8:10], s[0:1], 0x10
	s_load_b64 s[6:7], s[0:1], 0x20
	v_cmp_ne_u32_e64 s2, 0, v0
	s_mov_b32 s5, 0
	s_getreg_b32 s3, hwreg(HW_REG_IB_STS2, 6, 4)
	s_mov_b32 s11, exec_lo
	v_cmpx_eq_u32_e32 0, v0
	s_cbranch_execz .LBB4_5
; %bb.1:
	s_bfe_u32 s4, ttmp6, 0x4000c
	s_and_b32 s15, ttmp6, 15
	s_add_co_i32 s4, s4, 1
	s_wait_kmcnt 0x0
	s_mov_b32 s16, s14
	s_mul_i32 s4, ttmp9, s4
	s_mov_b32 s17, s5
	s_add_co_i32 s15, s15, s4
	s_cmp_eq_u32 s3, 0
	s_mov_b32 s18, s10
	s_mov_b32 s19, s5
	s_cselect_b32 s4, ttmp9, s15
	s_add_nc_u64 s[16:17], s[18:19], s[16:17]
	s_delay_alu instid0(SALU_CYCLE_1) | instskip(SKIP_2) | instid1(SALU_CYCLE_1)
	s_mul_u64 s[16:17], s[16:17], s[4:5]
	s_load_b32 s4, s[0:1], 0x28
	s_and_b64 s[18:19], s[16:17], 0xffffffff00000000
	s_cmp_lg_u64 s[18:19], 0
	s_cbranch_scc0 .LBB4_23
; %bb.2:
	s_wait_kmcnt 0x0
	s_cvt_f32_u32 s15, s4
	s_sub_nc_u64 s[22:23], 0, s[4:5]
	s_mov_b32 s19, 0
	s_delay_alu instid0(SALU_CYCLE_1) | instskip(NEXT) | instid1(SALU_CYCLE_3)
	s_fmamk_f32 s15, 0, 0x4f800000, s15
	v_s_rcp_f32 s15, s15
	s_delay_alu instid0(TRANS32_DEP_1) | instskip(NEXT) | instid1(SALU_CYCLE_3)
	s_mul_f32 s15, s15, 0x5f7ffffc
	s_mul_f32 s18, s15, 0x2f800000
	s_delay_alu instid0(SALU_CYCLE_3) | instskip(NEXT) | instid1(SALU_CYCLE_3)
	s_trunc_f32 s18, s18
	s_fmamk_f32 s15, s18, 0xcf800000, s15
	s_cvt_u32_f32 s21, s18
	s_delay_alu instid0(SALU_CYCLE_2) | instskip(NEXT) | instid1(SALU_CYCLE_3)
	s_cvt_u32_f32 s20, s15
	s_mul_u64 s[24:25], s[22:23], s[20:21]
	s_delay_alu instid0(SALU_CYCLE_1)
	s_mul_hi_u32 s27, s20, s25
	s_mul_i32 s26, s20, s25
	s_mul_hi_u32 s18, s20, s24
	s_mul_i32 s28, s21, s24
	s_add_nc_u64 s[26:27], s[18:19], s[26:27]
	s_mul_hi_u32 s15, s21, s24
	s_mul_hi_u32 s29, s21, s25
	s_add_co_u32 s18, s26, s28
	s_add_co_ci_u32 s18, s27, s15
	s_mul_i32 s24, s21, s25
	s_add_co_ci_u32 s25, s29, 0
	s_delay_alu instid0(SALU_CYCLE_1) | instskip(NEXT) | instid1(SALU_CYCLE_1)
	s_add_nc_u64 s[24:25], s[18:19], s[24:25]
	s_add_co_u32 s20, s20, s24
	s_cselect_b32 s15, -1, 0
	s_delay_alu instid0(SALU_CYCLE_1) | instskip(SKIP_1) | instid1(SALU_CYCLE_1)
	s_cmp_lg_u32 s15, 0
	s_add_co_ci_u32 s21, s21, s25
	s_mul_u64 s[22:23], s[22:23], s[20:21]
	s_delay_alu instid0(SALU_CYCLE_1)
	s_mul_hi_u32 s25, s20, s23
	s_mul_i32 s24, s20, s23
	s_mul_hi_u32 s18, s20, s22
	s_mul_i32 s26, s21, s22
	s_add_nc_u64 s[24:25], s[18:19], s[24:25]
	s_mul_hi_u32 s15, s21, s22
	s_mul_hi_u32 s27, s21, s23
	s_add_co_u32 s18, s24, s26
	s_add_co_ci_u32 s18, s25, s15
	s_mul_i32 s22, s21, s23
	s_add_co_ci_u32 s23, s27, 0
	s_delay_alu instid0(SALU_CYCLE_1) | instskip(NEXT) | instid1(SALU_CYCLE_1)
	s_add_nc_u64 s[22:23], s[18:19], s[22:23]
	s_add_co_u32 s15, s20, s22
	s_cselect_b32 s20, -1, 0
	s_mul_hi_u32 s18, s16, s15
	s_cmp_lg_u32 s20, 0
	s_mul_hi_u32 s24, s17, s15
	s_add_co_ci_u32 s22, s21, s23
	s_mul_i32 s15, s17, s15
	s_mul_hi_u32 s21, s16, s22
	s_mul_i32 s20, s16, s22
	s_mul_hi_u32 s23, s17, s22
	s_add_nc_u64 s[20:21], s[18:19], s[20:21]
	s_mul_i32 s22, s17, s22
	s_add_co_u32 s15, s20, s15
	s_add_co_ci_u32 s18, s21, s24
	s_add_co_ci_u32 s23, s23, 0
	s_delay_alu instid0(SALU_CYCLE_1) | instskip(NEXT) | instid1(SALU_CYCLE_1)
	s_add_nc_u64 s[20:21], s[18:19], s[22:23]
	s_and_b64 s[22:23], s[20:21], 0xffffffff00000000
	s_delay_alu instid0(SALU_CYCLE_1) | instskip(NEXT) | instid1(SALU_CYCLE_1)
	s_or_b32 s22, s22, s20
	s_mul_u64 s[20:21], s[4:5], s[22:23]
	s_add_nc_u64 s[24:25], s[22:23], 2
	s_sub_co_u32 s5, s16, s20
	s_cselect_b32 s15, -1, 0
	s_delay_alu instid0(SALU_CYCLE_1)
	s_cmp_lg_u32 s15, 0
	s_sub_co_ci_u32 s15, s17, s21
	s_sub_co_u32 s17, s5, s4
	s_cselect_b32 s18, -1, 0
	s_add_nc_u64 s[20:21], s[22:23], 1
	s_cmp_lg_u32 s18, 0
	s_sub_co_ci_u32 s18, s15, 0
	s_cmp_ge_u32 s17, s4
	s_cselect_b32 s17, -1, 0
	s_cmp_eq_u32 s18, 0
	s_cselect_b32 s17, s17, -1
	s_delay_alu instid0(SALU_CYCLE_1)
	s_cmp_lg_u32 s17, 0
	s_cselect_b32 s17, s24, s20
	s_cmp_ge_u32 s5, s4
	s_cselect_b32 s5, -1, 0
	s_cmp_eq_u32 s15, 0
	s_cselect_b32 s5, s5, -1
	s_delay_alu instid0(SALU_CYCLE_1)
	s_cmp_lg_u32 s5, 0
	s_cselect_b32 s20, s17, s22
	s_cbranch_execnz .LBB4_4
.LBB4_3:
	s_wait_kmcnt 0x0
	v_cvt_f32_u32_e32 v1, s4
	s_sub_co_i32 s15, 0, s4
	s_delay_alu instid0(VALU_DEP_1) | instskip(SKIP_1) | instid1(TRANS32_DEP_1)
	v_rcp_iflag_f32_e32 v1, v1
	v_nop
	v_mul_f32_e32 v1, 0x4f7ffffe, v1
	s_delay_alu instid0(VALU_DEP_1) | instskip(NEXT) | instid1(VALU_DEP_1)
	v_cvt_u32_f32_e32 v1, v1
	v_readfirstlane_b32 s5, v1
	s_mul_i32 s15, s15, s5
	s_delay_alu instid0(SALU_CYCLE_1) | instskip(NEXT) | instid1(SALU_CYCLE_1)
	s_mul_hi_u32 s15, s5, s15
	s_add_co_i32 s5, s5, s15
	s_delay_alu instid0(SALU_CYCLE_1) | instskip(NEXT) | instid1(SALU_CYCLE_1)
	s_mul_hi_u32 s5, s16, s5
	s_mul_i32 s15, s5, s4
	s_delay_alu instid0(SALU_CYCLE_1)
	s_sub_co_i32 s15, s16, s15
	s_add_co_i32 s16, s5, 1
	s_sub_co_i32 s17, s15, s4
	s_cmp_ge_u32 s15, s4
	s_cselect_b32 s5, s16, s5
	s_cselect_b32 s15, s17, s15
	s_add_co_i32 s16, s5, 1
	s_cmp_ge_u32 s15, s4
	s_cselect_b32 s20, s16, s5
.LBB4_4:
	s_wait_kmcnt 0x0
	s_mov_b64 s[4:5], src_shared_base
	s_min_u32 s4, s14, s20
	s_delay_alu instid0(SALU_CYCLE_1)
	v_dual_mov_b32 v1, 0 :: v_dual_mov_b32 v2, s4
	v_sub_nc_u32_e64 v3, s20, s14 clamp
	s_movk_i32 s4, 0x84
	s_movk_i32 s16, 0x88
	s_mov_b32 s17, s5
	flat_store_b32 v1, v2, s[4:5] scope:SCOPE_SYS
	s_wait_storecnt 0x0
	flat_store_b32 v1, v3, s[16:17] scope:SCOPE_SYS
	s_wait_storecnt 0x0
	flat_load_b32 v2, v1, s[16:17] scope:SCOPE_SYS
	s_wait_loadcnt 0x0
	s_wait_xcnt 0x0
	s_movk_i32 s16, 0x8c
	s_wait_dscnt 0x0
	flat_store_b32 v1, v2, s[16:17] scope:SCOPE_SYS
	s_wait_storecnt 0x0
	flat_load_b32 v2, v1, s[4:5] scope:SCOPE_SYS
	s_wait_loadcnt 0x0
	s_wait_xcnt 0x0
	s_movk_i32 s4, 0x90
	s_wait_dscnt 0x0
	flat_store_b32 v1, v2, s[4:5] scope:SCOPE_SYS
	s_wait_storecnt 0x0
	s_wait_xcnt 0x0
	s_movk_i32 s4, 0x80
	flat_store_b32 v1, v1, s[4:5] scope:SCOPE_SYS
	s_wait_storecnt 0x0
.LBB4_5:
	s_wait_xcnt 0x0
	s_or_b32 exec_lo, exec_lo, s11
	v_mov_b32_e32 v1, 0
	s_mov_b64 s[4:5], src_shared_base
	s_movk_i32 s4, 0x80
	s_wait_dscnt 0x0
	s_barrier_signal -1
	s_barrier_wait -1
	flat_load_b32 v1, v1, s[4:5] scope:SCOPE_SYS
	s_wait_loadcnt 0x0
	s_wait_xcnt 0x0
	s_mov_b32 s4, exec_lo
                                        ; implicit-def: $sgpr11
	s_wait_dscnt 0x0
	v_cmpx_ne_u32_e32 0, v1
	s_xor_b32 s4, exec_lo, s4
; %bb.6:
	s_bfe_u32 s5, ttmp6, 0x4000c
	s_and_b32 s11, ttmp6, 15
	s_add_co_i32 s5, s5, 1
	s_delay_alu instid0(SALU_CYCLE_1) | instskip(NEXT) | instid1(SALU_CYCLE_1)
	s_mul_i32 s5, ttmp9, s5
	s_add_co_i32 s11, s11, s5
	s_cmp_eq_u32 s3, 0
	s_cselect_b32 s11, ttmp9, s11
; %bb.7:
	s_or_saveexec_b32 s5, s4
	v_mov_b32_e32 v1, s11
	s_xor_b32 exec_lo, exec_lo, s5
	s_cbranch_execz .LBB4_20
; %bb.8:
	s_bfe_u32 s4, ttmp6, 0x4000c
	s_and_b32 s11, ttmp6, 15
	s_add_co_i32 s4, s4, 1
	v_dual_lshlrev_b32 v1, 2, v0 :: v_dual_add_nc_u32 v2, -16, v0
	s_mul_i32 s4, ttmp9, s4
	s_mov_b32 s19, 0
	s_add_co_i32 s11, s11, s4
	s_cmp_eq_u32 s3, 0
	v_dual_mov_b32 v4, 0 :: v_dual_add_nc_u32 v3, -4, v1
	s_cselect_b32 s18, ttmp9, s11
	v_dual_mov_b32 v5, 1 :: v_dual_mov_b32 v6, 0x84
	v_mov_b32_e32 v7, 0x88
	s_mov_b64 s[16:17], src_shared_base
	s_lshl_b64 s[20:21], s[18:19], 2
	s_add_nc_u64 s[22:23], s[0:1], 40
	s_wait_kmcnt 0x0
	s_add_nc_u64 s[20:21], s[6:7], s[20:21]
	s_add_co_i32 s11, s18, 1
	s_movk_i32 s24, 0x84
	s_mov_b32 s25, s17
	s_movk_i32 s26, 0x8c
	s_mov_b32 s27, s17
	;; [unrolled: 2-line block ×4, first 2 shown]
	s_movk_i32 s16, 0x80
	v_cmp_eq_u32_e32 vcc_lo, 16, v0
	s_branch .LBB4_10
.LBB4_9:                                ;   in Loop: Header=BB4_10 Depth=1
	s_wait_xcnt 0x0
	s_or_b32 exec_lo, exec_lo, s4
	s_wait_dscnt 0x0
	s_barrier_signal -1
	s_barrier_wait -1
	flat_load_b32 v8, v4, s[16:17] scope:SCOPE_SYS
	s_wait_loadcnt_dscnt 0x0
	v_cmp_ne_u32_e64 s3, 0, v8
	s_or_b32 s19, s3, s19
	s_delay_alu instid0(SALU_CYCLE_1)
	s_and_not1_b32 exec_lo, exec_lo, s19
	s_cbranch_execz .LBB4_19
.LBB4_10:                               ; =>This Inner Loop Header: Depth=1
	flat_load_b32 v8, v4, s[24:25] scope:SCOPE_SYS
	s_wait_loadcnt 0x0
	flat_load_b32 v9, v4, s[24:25] scope:SCOPE_SYS
	s_wait_loadcnt 0x0
	;; [unrolled: 2-line block ×5, first 2 shown]
	flat_load_b32 v13, v4, s[28:29] scope:SCOPE_SYS
	s_wait_loadcnt_dscnt 0x0
	v_dual_sub_nc_u32 v9, v9, v10 :: v_dual_sub_nc_u32 v10, v12, v13
	s_delay_alu instid0(VALU_DEP_1) | instskip(NEXT) | instid1(VALU_DEP_1)
	v_ashrrev_i32_e32 v9, 1, v9
	v_add_nc_u32_e32 v9, v0, v9
	s_delay_alu instid0(VALU_DEP_1) | instskip(NEXT) | instid1(VALU_DEP_1)
	v_dual_sub_nc_u32 v8, v8, v9 :: v_dual_ashrrev_i32 v9, 1, v10
	v_dual_mov_b32 v10, 0 :: v_dual_add_nc_u32 v8, 16, v8
	s_delay_alu instid0(VALU_DEP_2) | instskip(NEXT) | instid1(VALU_DEP_2)
	v_add3_u32 v9, v11, v2, v9
	v_cmp_gt_i32_e64 s3, s14, v8
	s_delay_alu instid0(VALU_DEP_2) | instskip(SKIP_1) | instid1(SALU_CYCLE_1)
	v_cmp_lt_i32_e64 s4, -1, v9
	s_and_b32 s3, s3, s4
	s_and_saveexec_b32 s15, s3
	s_cbranch_execz .LBB4_14
; %bb.11:                               ;   in Loop: Header=BB4_10 Depth=1
	v_cmp_gt_i32_e64 s3, s10, v9
	v_cmp_lt_i32_e64 s4, 0, v8
	v_mov_b32_e32 v10, 1
	s_and_b32 s3, s4, s3
	s_delay_alu instid0(SALU_CYCLE_1)
	s_and_saveexec_b32 s4, s3
	s_cbranch_execz .LBB4_13
; %bb.12:                               ;   in Loop: Header=BB4_10 Depth=1
	global_load_b64 v[10:11], v8, s[12:13] offset:-8 scale_offset
	global_load_b64 v[12:13], v9, s[8:9] scale_offset
	s_wait_loadcnt 0x0
	v_cmp_le_u64_e64 s3, v[10:11], v[12:13]
	s_delay_alu instid0(VALU_DEP_1)
	v_cndmask_b32_e64 v10, 0, 1, s3
.LBB4_13:                               ;   in Loop: Header=BB4_10 Depth=1
	s_or_b32 exec_lo, exec_lo, s4
.LBB4_14:                               ;   in Loop: Header=BB4_10 Depth=1
	s_delay_alu instid0(SALU_CYCLE_1)
	s_or_b32 exec_lo, exec_lo, s15
	ds_store_b32 v1, v10
	s_wait_dscnt 0x0
	s_barrier_signal -1
	s_barrier_wait -1
	s_and_saveexec_b32 s4, s2
	s_cbranch_execz .LBB4_17
; %bb.15:                               ;   in Loop: Header=BB4_10 Depth=1
	ds_load_2addr_b32 v[10:11], v3 offset1:1
	s_wait_dscnt 0x0
	v_cmp_ne_u32_e64 s3, v11, v10
	s_and_b32 exec_lo, exec_lo, s3
	s_cbranch_execz .LBB4_17
; %bb.16:                               ;   in Loop: Header=BB4_10 Depth=1
	flat_store_b32 v4, v5, s[16:17] scope:SCOPE_SYS
	s_wait_storecnt 0x0
	s_load_b32 s3, s[22:23], 0x0
	s_wait_kmcnt 0x0
	s_add_co_i32 s3, s11, s3
	s_delay_alu instid0(SALU_CYCLE_1)
	v_mov_b32_e32 v10, s3
	s_clause 0x1
	global_store_b32 v4, v8, s[20:21]
	global_store_b32 v10, v9, s[6:7] scale_offset
.LBB4_17:                               ;   in Loop: Header=BB4_10 Depth=1
	s_wait_xcnt 0x0
	s_or_b32 exec_lo, exec_lo, s4
	s_wait_storecnt_dscnt 0x0
	s_barrier_signal -1
	s_barrier_wait -1
	s_and_saveexec_b32 s4, vcc_lo
	s_cbranch_execz .LBB4_9
; %bb.18:                               ;   in Loop: Header=BB4_10 Depth=1
	ds_load_b32 v10, v4 offset:124
	v_dual_mov_b32 v11, s17 :: v_dual_mov_b32 v13, s17
	s_wait_dscnt 0x0
	v_cmp_eq_u32_e64 s3, 0, v10
	s_delay_alu instid0(VALU_DEP_1)
	v_cndmask_b32_e64 v10, 0x8c, v6, s3
	v_cndmask_b32_e64 v12, 0x90, v7, s3
	flat_store_b32 v[10:11], v8 scope:SCOPE_SYS
	s_wait_storecnt 0x0
	flat_store_b32 v[12:13], v9 scope:SCOPE_SYS
	s_wait_storecnt 0x0
	s_branch .LBB4_9
.LBB4_19:
	s_or_b32 exec_lo, exec_lo, s19
	v_mov_b32_e32 v1, s18
.LBB4_20:
	s_or_b32 exec_lo, exec_lo, s5
	s_delay_alu instid0(VALU_DEP_1) | instskip(SKIP_1) | instid1(VALU_DEP_1)
	v_or_b32_e32 v0, v0, v1
	s_mov_b32 s2, exec_lo
	v_cmpx_eq_u32_e32 0, v0
	s_cbranch_execz .LBB4_22
; %bb.21:
	s_load_b32 s0, s[0:1], 0x28
	s_wait_kmcnt 0x0
	v_dual_mov_b32 v0, 0 :: v_dual_mov_b32 v1, s14
	s_add_co_i32 s1, s0, 1
	s_delay_alu instid0(SALU_CYCLE_1) | instskip(SKIP_1) | instid1(SALU_CYCLE_1)
	v_dual_mov_b32 v2, s10 :: v_dual_mov_b32 v3, s1
	s_lshl_b32 s2, s0, 1
	v_dual_mov_b32 v4, s0 :: v_dual_mov_b32 v5, s2
	s_clause 0x3
	global_store_b32 v0, v0, s[6:7]
	global_store_b32 v3, v0, s[6:7] scale_offset
	global_store_b32 v4, v1, s[6:7] scale_offset
	global_store_b32 v5, v2, s[6:7] offset:4 scale_offset
.LBB4_22:
	s_endpgm
.LBB4_23:
                                        ; implicit-def: $sgpr20_sgpr21
	s_branch .LBB4_3
	.section	.rodata,"a",@progbits
	.p2align	6, 0x0
	.amdhsa_kernel _Z17workloadDiagonalsImEvPKT_jS2_jPj
		.amdhsa_group_segment_fixed_size 148
		.amdhsa_private_segment_fixed_size 0
		.amdhsa_kernarg_size 296
		.amdhsa_user_sgpr_count 2
		.amdhsa_user_sgpr_dispatch_ptr 0
		.amdhsa_user_sgpr_queue_ptr 0
		.amdhsa_user_sgpr_kernarg_segment_ptr 1
		.amdhsa_user_sgpr_dispatch_id 0
		.amdhsa_user_sgpr_kernarg_preload_length 0
		.amdhsa_user_sgpr_kernarg_preload_offset 0
		.amdhsa_user_sgpr_private_segment_size 0
		.amdhsa_wavefront_size32 1
		.amdhsa_uses_dynamic_stack 0
		.amdhsa_enable_private_segment 0
		.amdhsa_system_sgpr_workgroup_id_x 1
		.amdhsa_system_sgpr_workgroup_id_y 0
		.amdhsa_system_sgpr_workgroup_id_z 0
		.amdhsa_system_sgpr_workgroup_info 0
		.amdhsa_system_vgpr_workitem_id 0
		.amdhsa_next_free_vgpr 14
		.amdhsa_next_free_sgpr 32
		.amdhsa_named_barrier_count 0
		.amdhsa_reserve_vcc 1
		.amdhsa_float_round_mode_32 0
		.amdhsa_float_round_mode_16_64 0
		.amdhsa_float_denorm_mode_32 3
		.amdhsa_float_denorm_mode_16_64 3
		.amdhsa_fp16_overflow 0
		.amdhsa_memory_ordered 1
		.amdhsa_forward_progress 1
		.amdhsa_inst_pref_size 15
		.amdhsa_round_robin_scheduling 0
		.amdhsa_exception_fp_ieee_invalid_op 0
		.amdhsa_exception_fp_denorm_src 0
		.amdhsa_exception_fp_ieee_div_zero 0
		.amdhsa_exception_fp_ieee_overflow 0
		.amdhsa_exception_fp_ieee_underflow 0
		.amdhsa_exception_fp_ieee_inexact 0
		.amdhsa_exception_int_div_zero 0
	.end_amdhsa_kernel
	.section	.text._Z17workloadDiagonalsImEvPKT_jS2_jPj,"axG",@progbits,_Z17workloadDiagonalsImEvPKT_jS2_jPj,comdat
.Lfunc_end4:
	.size	_Z17workloadDiagonalsImEvPKT_jS2_jPj, .Lfunc_end4-_Z17workloadDiagonalsImEvPKT_jS2_jPj
                                        ; -- End function
	.set _Z17workloadDiagonalsImEvPKT_jS2_jPj.num_vgpr, 14
	.set _Z17workloadDiagonalsImEvPKT_jS2_jPj.num_agpr, 0
	.set _Z17workloadDiagonalsImEvPKT_jS2_jPj.numbered_sgpr, 32
	.set _Z17workloadDiagonalsImEvPKT_jS2_jPj.num_named_barrier, 0
	.set _Z17workloadDiagonalsImEvPKT_jS2_jPj.private_seg_size, 0
	.set _Z17workloadDiagonalsImEvPKT_jS2_jPj.uses_vcc, 1
	.set _Z17workloadDiagonalsImEvPKT_jS2_jPj.uses_flat_scratch, 0
	.set _Z17workloadDiagonalsImEvPKT_jS2_jPj.has_dyn_sized_stack, 0
	.set _Z17workloadDiagonalsImEvPKT_jS2_jPj.has_recursion, 0
	.set _Z17workloadDiagonalsImEvPKT_jS2_jPj.has_indirect_call, 0
	.section	.AMDGPU.csdata,"",@progbits
; Kernel info:
; codeLenInByte = 1868
; TotalNumSgprs: 34
; NumVgprs: 14
; ScratchSize: 0
; MemoryBound: 0
; FloatMode: 240
; IeeeMode: 1
; LDSByteSize: 148 bytes/workgroup (compile time only)
; SGPRBlocks: 0
; VGPRBlocks: 0
; NumSGPRsForWavesPerEU: 34
; NumVGPRsForWavesPerEU: 14
; NamedBarCnt: 0
; Occupancy: 16
; WaveLimiterHint : 1
; COMPUTE_PGM_RSRC2:SCRATCH_EN: 0
; COMPUTE_PGM_RSRC2:USER_SGPR: 2
; COMPUTE_PGM_RSRC2:TRAP_HANDLER: 0
; COMPUTE_PGM_RSRC2:TGID_X_EN: 1
; COMPUTE_PGM_RSRC2:TGID_Y_EN: 0
; COMPUTE_PGM_RSRC2:TGID_Z_EN: 0
; COMPUTE_PGM_RSRC2:TIDIG_COMP_CNT: 0
	.section	.text._Z15mergeSinglePathImLb0ELb0EEvPKT_jS2_jPKjPS0_j,"axG",@progbits,_Z15mergeSinglePathImLb0ELb0EEvPKT_jS2_jPKjPS0_j,comdat
	.protected	_Z15mergeSinglePathImLb0ELb0EEvPKT_jS2_jPKjPS0_j ; -- Begin function _Z15mergeSinglePathImLb0ELb0EEvPKT_jS2_jPKjPS0_j
	.globl	_Z15mergeSinglePathImLb0ELb0EEvPKT_jS2_jPKjPS0_j
	.p2align	8
	.type	_Z15mergeSinglePathImLb0ELb0EEvPKT_jS2_jPKjPS0_j,@function
_Z15mergeSinglePathImLb0ELb0EEvPKT_jS2_jPKjPS0_j: ; @_Z15mergeSinglePathImLb0ELb0EEvPKT_jS2_jPKjPS0_j
; %bb.0:
	s_clause 0x2
	s_load_b64 s[8:9], s[0:1], 0x0
	s_load_b64 s[10:11], s[0:1], 0x10
	s_load_b128 s[4:7], s[0:1], 0x20
	v_alignbit_b32 v1, v0, v0, 5
	s_mov_b32 s2, exec_lo
	s_delay_alu instid0(VALU_DEP_1)
	v_cmpx_lt_i32_e32 1, v1
	s_xor_b32 s2, exec_lo, s2
	s_cbranch_execz .LBB5_8
; %bb.1:
	s_mov_b32 s3, exec_lo
	v_cmpx_lt_i32_e32 2, v1
	s_xor_b32 s3, exec_lo, s3
	s_cbranch_execz .LBB5_5
; %bb.2:
	s_mov_b32 s12, exec_lo
	v_cmpx_eq_u32_e32 3, v1
	s_cbranch_execz .LBB5_4
; %bb.3:
	s_load_b32 s13, s[0:1], 0x38
	s_mov_b64 s[14:15], src_shared_base
	s_bfe_u32 s14, ttmp6, 0x4000c
	s_and_b32 s16, ttmp6, 15
	s_add_co_i32 s14, s14, 1
	s_getreg_b32 s17, hwreg(HW_REG_IB_STS2, 6, 4)
	s_mul_i32 s14, ttmp9, s14
	v_mov_b64_e32 v[2:3], -1
	s_add_co_i32 s16, s16, s14
	s_cmp_eq_u32 s17, 0
	s_cselect_b32 s14, ttmp9, s16
	s_wait_kmcnt 0x0
	s_add_co_i32 s13, s14, s13
	s_movk_i32 s14, 0x202c
	s_add_co_i32 s13, s13, 2
	s_load_b32 s13, s[4:5], s13 offset:0x0 scale_offset
	s_wait_kmcnt 0x0
	v_dual_mov_b32 v1, 0 :: v_dual_mov_b32 v4, s13
	flat_store_b32 v1, v4, s[14:15] scope:SCOPE_SYS
	s_wait_storecnt 0x0
	ds_store_b64 v1, v[2:3] offset:8216
.LBB5_4:
	s_wait_xcnt 0x0
	s_or_b32 exec_lo, exec_lo, s12
.LBB5_5:
	s_and_not1_saveexec_b32 s3, s3
	s_cbranch_execz .LBB5_7
; %bb.6:
	s_mov_b64 s[12:13], src_shared_base
	s_load_b32 s12, s[0:1], 0x38
	s_bfe_u32 s14, ttmp6, 0x4000c
	s_and_b32 s15, ttmp6, 15
	s_add_co_i32 s14, s14, 1
	s_getreg_b32 s16, hwreg(HW_REG_IB_STS2, 6, 4)
	s_mul_i32 s14, ttmp9, s14
	v_mov_b64_e32 v[2:3], -1
	s_add_co_i32 s15, s15, s14
	s_cmp_eq_u32 s16, 0
	s_cselect_b32 s14, ttmp9, s15
	s_wait_kmcnt 0x0
	s_add_co_i32 s12, s14, s12
	s_delay_alu instid0(SALU_CYCLE_1)
	s_add_co_i32 s12, s12, 1
	s_load_b32 s12, s[4:5], s12 offset:0x0 scale_offset
	s_wait_kmcnt 0x0
	v_dual_mov_b32 v1, 0 :: v_dual_mov_b32 v4, s12
	s_movk_i32 s12, 0x2024
	flat_store_b32 v1, v4, s[12:13] scope:SCOPE_SYS
	s_wait_storecnt 0x0
	ds_store_b64 v1, v[2:3] offset:4104
.LBB5_7:
	s_wait_xcnt 0x0
	s_or_b32 exec_lo, exec_lo, s3
                                        ; implicit-def: $vgpr1
.LBB5_8:
	s_and_not1_saveexec_b32 s2, s2
	s_cbranch_execz .LBB5_16
; %bb.9:
	s_mov_b32 s3, exec_lo
	v_cmpx_lt_i32_e32 0, v1
	s_xor_b32 s3, exec_lo, s3
	s_cbranch_execz .LBB5_11
; %bb.10:
	s_mov_b64 s[12:13], src_shared_base
	s_bfe_u32 s12, ttmp6, 0x4000c
	s_and_b32 s14, ttmp6, 15
	s_add_co_i32 s12, s12, 1
	s_getreg_b32 s15, hwreg(HW_REG_IB_STS2, 6, 4)
	s_mul_i32 s12, ttmp9, s12
	v_mov_b64_e32 v[2:3], 0
	s_add_co_i32 s14, s14, s12
	s_cmp_eq_u32 s15, 0
	s_cselect_b32 s12, ttmp9, s14
	s_delay_alu instid0(SALU_CYCLE_1)
	s_add_co_i32 s12, s12, 1
	s_wait_kmcnt 0x0
	s_load_b32 s12, s[4:5], s12 offset:0x0 scale_offset
	s_wait_kmcnt 0x0
	v_dual_mov_b32 v1, 0 :: v_dual_mov_b32 v4, s12
	s_movk_i32 s12, 0x2028
	flat_store_b32 v1, v4, s[12:13] scope:SCOPE_SYS
	s_wait_storecnt 0x0
	ds_store_b64 v1, v[2:3] offset:4112
                                        ; implicit-def: $vgpr1
.LBB5_11:
	s_wait_xcnt 0x0
	s_and_not1_saveexec_b32 s3, s3
	s_cbranch_execz .LBB5_15
; %bb.12:
	s_mov_b32 s12, exec_lo
	v_cmpx_eq_u32_e32 0, v1
	s_cbranch_execz .LBB5_14
; %bb.13:
	s_bfe_u32 s13, ttmp6, 0x4000c
	s_mov_b64 s[14:15], src_shared_base
	s_add_co_i32 s13, s13, 1
	s_and_b32 s14, ttmp6, 15
	s_mul_i32 s13, ttmp9, s13
	s_getreg_b32 s16, hwreg(HW_REG_IB_STS2, 6, 4)
	s_add_co_i32 s14, s14, s13
	s_cmp_eq_u32 s16, 0
	v_mov_b64_e32 v[2:3], 0
	s_cselect_b32 s13, ttmp9, s14
	s_movk_i32 s14, 0x2020
	s_wait_kmcnt 0x0
	s_load_b32 s4, s[4:5], s13 offset:0x0 scale_offset
	s_wait_kmcnt 0x0
	v_dual_mov_b32 v1, 0 :: v_dual_mov_b32 v4, s4
	flat_store_b32 v1, v4, s[14:15] scope:SCOPE_SYS
	s_wait_storecnt 0x0
	ds_store_b64 v1, v[2:3]
.LBB5_14:
	s_wait_xcnt 0x0
	s_or_b32 exec_lo, exec_lo, s12
.LBB5_15:
	s_delay_alu instid0(SALU_CYCLE_1)
	s_or_b32 exec_lo, exec_lo, s3
.LBB5_16:
	s_delay_alu instid0(SALU_CYCLE_1)
	s_or_b32 exec_lo, exec_lo, s2
	v_dual_lshlrev_b32 v4, 2, v0 :: v_dual_lshlrev_b32 v5, 1, v0
	v_mov_b32_e32 v7, 0
	s_mov_b64 s[2:3], src_shared_base
	s_wait_kmcnt 0x0
	s_add_nc_u64 s[4:5], s[0:1], 56
	v_or_b32_e32 v22, 2, v4
	v_dual_mov_b32 v9, v7 :: v_dual_lshlrev_b32 v8, 3, v0
	v_dual_lshlrev_b32 v14, 3, v4 :: v_dual_bitop2_b32 v23, 1, v5 bitop3:0x54
	s_mov_b32 s1, 0
	s_delay_alu instid0(VALU_DEP_2) | instskip(NEXT) | instid1(VALU_DEP_3)
	v_mad_u32_u24 v24, v0, 24, v8
	v_add_nc_u64_e32 v[10:11], s[8:9], v[8:9]
	v_add_nc_u64_e32 v[12:13], s[10:11], v[8:9]
	s_movk_i32 s8, 0x2020
	s_mov_b32 s9, s3
	s_movk_i32 s10, 0x2028
	s_mov_b32 s11, s3
	s_movk_i32 s2, 0x2024
	s_movk_i32 s12, 0x202c
	s_mov_b32 s14, 0
	s_wait_dscnt 0x0
	s_barrier_signal -1
	s_barrier_wait -1
	v_cmp_eq_u32_e32 vcc_lo, 0x7f, v0
	s_branch .LBB5_19
.LBB5_17:                               ;   in Loop: Header=BB5_19 Depth=1
	s_wait_xcnt 0x0
	s_or_b32 exec_lo, exec_lo, s0
	s_delay_alu instid0(SALU_CYCLE_1)
	s_xor_b32 s0, exec_lo, -1
	s_wait_storecnt_dscnt 0x0
	s_barrier_signal -1
	s_barrier_wait -1
.LBB5_18:                               ;   in Loop: Header=BB5_19 Depth=1
	s_or_b32 exec_lo, exec_lo, s13
	s_delay_alu instid0(SALU_CYCLE_1) | instskip(NEXT) | instid1(SALU_CYCLE_1)
	s_and_b32 s0, exec_lo, s0
	s_or_b32 s14, s0, s14
	s_delay_alu instid0(SALU_CYCLE_1)
	s_and_not1_b32 exec_lo, exec_lo, s14
	s_cbranch_execz .LBB5_43
.LBB5_19:                               ; =>This Loop Header: Depth=1
                                        ;     Child Loop BB5_24 Depth 2
	flat_load_b32 v0, v7, s[8:9] scope:SCOPE_SYS
	s_wait_loadcnt 0x0
	flat_load_b32 v1, v7, s[10:11] scope:SCOPE_SYS
	s_wait_loadcnt 0x0
	s_mov_b32 s16, -1
	s_mov_b32 s15, exec_lo
	s_wait_dscnt 0x0
	s_wait_xcnt 0x0
	v_cmpx_ge_u32_e64 v0, v1
	s_cbranch_execz .LBB5_21
; %bb.20:                               ;   in Loop: Header=BB5_19 Depth=1
	s_mov_b32 s13, s3
	flat_load_b32 v0, v7, s[2:3] scope:SCOPE_SYS
	s_wait_loadcnt 0x0
	flat_load_b32 v1, v7, s[12:13] scope:SCOPE_SYS
	s_wait_loadcnt_dscnt 0x0
	v_cmp_lt_u32_e64 s0, v0, v1
	s_or_not1_b32 s16, s0, exec_lo
.LBB5_21:                               ;   in Loop: Header=BB5_19 Depth=1
	s_or_b32 exec_lo, exec_lo, s15
	s_mov_b32 s0, -1
	s_and_saveexec_b32 s13, s16
	s_cbranch_execz .LBB5_18
; %bb.22:                               ;   in Loop: Header=BB5_19 Depth=1
	flat_load_b32 v6, v7, s[8:9] scope:SCOPE_SYS
	s_wait_loadcnt 0x0
	flat_load_b32 v0, v7, s[2:3] scope:SCOPE_SYS
	s_wait_loadcnt 0x0
	s_load_b32 s0, s[4:5], 0xc
	s_mov_b32 s15, 0
	s_mov_b32 s16, 0
                                        ; implicit-def: $sgpr17
	v_mov_b32_e32 v15, v5
	s_wait_kmcnt 0x0
	s_and_b32 s0, s0, 0xffff
	s_delay_alu instid0(SALU_CYCLE_1) | instskip(SKIP_4) | instid1(VALU_DEP_2)
	s_lshl_b32 s0, s0, 3
	v_mov_b32_e32 v1, v7
	s_wait_dscnt 0x1
	v_lshl_add_u64 v[2:3], v[6:7], 3, v[10:11]
	s_wait_dscnt 0x0
	v_lshl_add_u64 v[0:1], v[0:1], 3, v[12:13]
	s_delay_alu instid0(VALU_DEP_2) | instskip(NEXT) | instid1(VALU_DEP_2)
	v_add_nc_u64_e32 v[16:17], s[0:1], v[2:3]
	v_add_nc_u64_e32 v[18:19], s[0:1], v[0:1]
	global_load_b64 v[2:3], v[2:3], off
	v_add_nc_u64_e32 v[20:21], s[0:1], v[16:17]
	v_add_nc_u64_e32 v[26:27], s[0:1], v[18:19]
	s_delay_alu instid0(VALU_DEP_2) | instskip(NEXT) | instid1(VALU_DEP_2)
	v_add_nc_u64_e32 v[28:29], s[0:1], v[20:21]
	v_add_nc_u64_e32 v[30:31], s[0:1], v[26:27]
	global_load_b64 v[32:33], v[0:1], off
	global_load_b64 v[34:35], v[16:17], off
	;; [unrolled: 1-line block ×7, first 2 shown]
	s_wait_xcnt 0x5
	v_dual_add_nc_u32 v0, s0, v8 :: v_dual_mov_b32 v16, v23
	s_delay_alu instid0(VALU_DEP_1) | instskip(NEXT) | instid1(VALU_DEP_1)
	v_add_nc_u32_e32 v1, s0, v0
	v_add_nc_u32_e32 v6, s0, v1
	s_wait_loadcnt 0x7
	ds_store_b64 v8, v[2:3] offset:8
	s_wait_loadcnt 0x6
	ds_store_b64 v8, v[32:33] offset:4120
	;; [unrolled: 2-line block ×8, first 2 shown]
	flat_load_b32 v6, v7, s[8:9] scope:SCOPE_SYS
	s_wait_loadcnt 0x0
	flat_load_b32 v0, v7, s[2:3] scope:SCOPE_SYS
	s_wait_loadcnt_dscnt 0x0
	s_barrier_signal -1
	s_barrier_wait -1
	s_branch .LBB5_24
.LBB5_23:                               ;   in Loop: Header=BB5_24 Depth=2
	s_or_b32 exec_lo, exec_lo, s17
	s_delay_alu instid0(SALU_CYCLE_1) | instskip(SKIP_2) | instid1(SALU_CYCLE_1)
	s_and_b32 s0, exec_lo, s16
	s_mov_b32 s16, 0
	s_or_b32 s15, s0, s15
                                        ; implicit-def: $sgpr17
	s_and_not1_b32 exec_lo, exec_lo, s15
	s_cbranch_execz .LBB5_29
.LBB5_24:                               ;   Parent Loop BB5_19 Depth=1
                                        ; =>  This Inner Loop Header: Depth=2
	v_dual_mov_b32 v1, v16 :: v_dual_add_nc_u32 v15, 1, v15
	s_or_b32 s17, s17, exec_lo
	s_mov_b32 s18, exec_lo
                                        ; implicit-def: $vgpr16
	s_delay_alu instid0(VALU_DEP_1) | instskip(NEXT) | instid1(VALU_DEP_2)
	v_not_b32_e32 v2, v1
	v_dual_lshlrev_b32 v9, 3, v1 :: v_dual_lshrrev_b32 v15, 1, v15
	s_delay_alu instid0(VALU_DEP_2)
	v_lshl_add_u32 v17, v2, 3, v24
	ds_load_b64 v[2:3], v9
	ds_load_b64 v[18:19], v17 offset:4128
	s_wait_dscnt 0x0
	v_cmpx_le_u64_e64 v[2:3], v[18:19]
; %bb.25:                               ;   in Loop: Header=BB5_24 Depth=2
	v_add_nc_u32_e32 v16, v15, v1
	s_and_not1_b32 s17, s17, exec_lo
; %bb.26:                               ;   in Loop: Header=BB5_24 Depth=2
	s_or_b32 exec_lo, exec_lo, s18
	s_delay_alu instid0(SALU_CYCLE_1) | instskip(NEXT) | instid1(SALU_CYCLE_1)
	s_and_b32 s0, exec_lo, s17
	s_or_b32 s16, s0, s16
	s_delay_alu instid0(SALU_CYCLE_1)
	s_and_not1_b32 exec_lo, exec_lo, s16
	s_cbranch_execnz .LBB5_24
; %bb.27:                               ;   in Loop: Header=BB5_24 Depth=2
	s_or_b32 exec_lo, exec_lo, s16
	v_add_nc_u32_e32 v16, -8, v9
	s_mov_b32 s16, -1
	ds_load_b64 v[18:19], v16
	ds_load_b64 v[16:17], v17 offset:4136
	s_wait_dscnt 0x0
	v_cmp_gt_u64_e64 s0, v[18:19], v[16:17]
                                        ; implicit-def: $vgpr16
	s_and_saveexec_b32 s17, s0
	s_cbranch_execz .LBB5_23
; %bb.28:                               ;   in Loop: Header=BB5_24 Depth=2
	v_sub_nc_u32_e32 v16, v1, v15
	s_xor_b32 s16, exec_lo, -1
	s_branch .LBB5_23
.LBB5_29:                               ;   in Loop: Header=BB5_19 Depth=1
	s_or_b32 exec_lo, exec_lo, s15
	v_sub_nc_u32_e32 v15, v4, v1
                                        ; implicit-def: $vgpr18_vgpr19
                                        ; implicit-def: $vgpr25
	s_delay_alu instid0(VALU_DEP_1) | instskip(SKIP_4) | instid1(SALU_CYCLE_1)
	v_lshlrev_b32_e32 v15, 3, v15
	ds_load_b64 v[16:17], v15 offset:4128
	s_wait_dscnt 0x0
	v_cmp_le_u64_e64 s0, v[2:3], v[16:17]
	s_and_saveexec_b32 s15, s0
	s_xor_b32 s0, exec_lo, s15
; %bb.30:                               ;   in Loop: Header=BB5_19 Depth=1
	ds_load_b64 v[18:19], v9 offset:8
	v_add_nc_u32_e32 v25, 1, v1
                                        ; implicit-def: $vgpr15
; %bb.31:                               ;   in Loop: Header=BB5_19 Depth=1
	s_or_saveexec_b32 s0, s0
	v_mov_b64_e32 v[20:21], v[16:17]
	v_sub_nc_u32_e32 v9, v22, v1
	s_xor_b32 exec_lo, exec_lo, s0
	s_cbranch_execz .LBB5_33
; %bb.32:                               ;   in Loop: Header=BB5_19 Depth=1
	ds_load_b64 v[20:21], v15 offset:4136
	s_wait_dscnt 0x1
	v_mov_b64_e32 v[18:19], v[2:3]
	v_mov_b64_e32 v[2:3], v[16:17]
	v_dual_add_nc_u32 v9, 1, v9 :: v_dual_mov_b32 v25, v1
.LBB5_33:                               ;   in Loop: Header=BB5_19 Depth=1
	s_or_b32 exec_lo, exec_lo, s0
	v_dual_mov_b32 v1, v7 :: v_dual_mov_b32 v15, v7
	v_lshl_add_u64 v[16:17], v[6:7], 3, s[6:7]
	s_wait_dscnt 0x0
	v_cmp_le_u64_e64 s0, v[18:19], v[20:21]
                                        ; implicit-def: $vgpr6
	s_delay_alu instid0(VALU_DEP_2) | instskip(NEXT) | instid1(VALU_DEP_1)
	v_lshl_add_u64 v[0:1], v[0:1], 3, v[16:17]
	v_add_nc_u64_e32 v[16:17], v[0:1], v[14:15]
                                        ; implicit-def: $vgpr0_vgpr1
	global_store_b64 v[16:17], v[2:3], off
	s_wait_xcnt 0x0
	s_and_saveexec_b32 s15, s0
	s_delay_alu instid0(SALU_CYCLE_1)
	s_xor_b32 s0, exec_lo, s15
; %bb.34:                               ;   in Loop: Header=BB5_19 Depth=1
	v_dual_lshlrev_b32 v0, 3, v25 :: v_dual_add_nc_u32 v6, 1, v25
                                        ; implicit-def: $vgpr25
	ds_load_b64 v[0:1], v0 offset:8
; %bb.35:                               ;   in Loop: Header=BB5_19 Depth=1
	s_or_saveexec_b32 s0, s0
	v_mov_b64_e32 v[2:3], v[20:21]
	s_xor_b32 exec_lo, exec_lo, s0
	s_cbranch_execz .LBB5_37
; %bb.36:                               ;   in Loop: Header=BB5_19 Depth=1
	s_wait_dscnt 0x0
	v_dual_lshlrev_b32 v0, 3, v9 :: v_dual_add_nc_u32 v9, 1, v9
	v_mov_b32_e32 v6, v25
	ds_load_b64 v[2:3], v0 offset:4120
	v_mov_b64_e32 v[0:1], v[18:19]
	v_mov_b64_e32 v[18:19], v[20:21]
.LBB5_37:                               ;   in Loop: Header=BB5_19 Depth=1
	s_or_b32 exec_lo, exec_lo, s0
	s_wait_dscnt 0x0
	s_delay_alu instid0(VALU_DEP_1) | instskip(SKIP_3) | instid1(SALU_CYCLE_1)
	v_cmp_le_u64_e64 s0, v[0:1], v[2:3]
	global_store_b64 v[16:17], v[18:19], off offset:8
                                        ; implicit-def: $vgpr18_vgpr19
	s_wait_xcnt 0x0
	s_and_saveexec_b32 s15, s0
	s_xor_b32 s0, exec_lo, s15
; %bb.38:                               ;   in Loop: Header=BB5_19 Depth=1
	v_dual_lshlrev_b32 v15, 3, v6 :: v_dual_add_nc_u32 v9, -1, v9
	ds_load_b64 v[18:19], v15 offset:8
; %bb.39:                               ;   in Loop: Header=BB5_19 Depth=1
	s_or_saveexec_b32 s0, s0
	v_mov_b64_e32 v[20:21], v[2:3]
	s_xor_b32 exec_lo, exec_lo, s0
	s_cbranch_execz .LBB5_41
; %bb.40:                               ;   in Loop: Header=BB5_19 Depth=1
	v_dual_lshlrev_b32 v15, 3, v9 :: v_dual_add_nc_u32 v6, -1, v6
	s_wait_dscnt 0x0
	v_mov_b64_e32 v[18:19], v[0:1]
	v_mov_b64_e32 v[0:1], v[2:3]
	ds_load_b64 v[20:21], v15 offset:4120
.LBB5_41:                               ;   in Loop: Header=BB5_19 Depth=1
	s_or_b32 exec_lo, exec_lo, s0
	s_wait_dscnt 0x0
	s_delay_alu instid0(VALU_DEP_1)
	v_min_u64 v[2:3], v[18:19], v[20:21]
	global_store_b128 v[16:17], v[0:3], off offset:16
	s_wait_xcnt 0x0
	s_and_saveexec_b32 s0, vcc_lo
	s_cbranch_execz .LBB5_17
; %bb.42:                               ;   in Loop: Header=BB5_19 Depth=1
	flat_load_b32 v0, v7, s[8:9] scope:SCOPE_SYS
	s_wait_loadcnt_dscnt 0x0
	v_add_nc_u32_e32 v0, v0, v6
	flat_store_b32 v7, v0, s[8:9] scope:SCOPE_SYS
	s_wait_storecnt 0x0
	flat_load_b32 v0, v7, s[2:3] scope:SCOPE_SYS
	s_wait_loadcnt_dscnt 0x0
	v_add_nc_u32_e32 v0, v0, v9
	flat_store_b32 v7, v0, s[2:3] scope:SCOPE_SYS
	s_wait_storecnt 0x0
	s_branch .LBB5_17
.LBB5_43:
	s_endpgm
	.section	.rodata,"a",@progbits
	.p2align	6, 0x0
	.amdhsa_kernel _Z15mergeSinglePathImLb0ELb0EEvPKT_jS2_jPKjPS0_j
		.amdhsa_group_segment_fixed_size 8240
		.amdhsa_private_segment_fixed_size 0
		.amdhsa_kernarg_size 312
		.amdhsa_user_sgpr_count 2
		.amdhsa_user_sgpr_dispatch_ptr 0
		.amdhsa_user_sgpr_queue_ptr 0
		.amdhsa_user_sgpr_kernarg_segment_ptr 1
		.amdhsa_user_sgpr_dispatch_id 0
		.amdhsa_user_sgpr_kernarg_preload_length 0
		.amdhsa_user_sgpr_kernarg_preload_offset 0
		.amdhsa_user_sgpr_private_segment_size 0
		.amdhsa_wavefront_size32 1
		.amdhsa_uses_dynamic_stack 0
		.amdhsa_enable_private_segment 0
		.amdhsa_system_sgpr_workgroup_id_x 1
		.amdhsa_system_sgpr_workgroup_id_y 0
		.amdhsa_system_sgpr_workgroup_id_z 0
		.amdhsa_system_sgpr_workgroup_info 0
		.amdhsa_system_vgpr_workitem_id 0
		.amdhsa_next_free_vgpr 46
		.amdhsa_next_free_sgpr 19
		.amdhsa_named_barrier_count 0
		.amdhsa_reserve_vcc 1
		.amdhsa_float_round_mode_32 0
		.amdhsa_float_round_mode_16_64 0
		.amdhsa_float_denorm_mode_32 3
		.amdhsa_float_denorm_mode_16_64 3
		.amdhsa_fp16_overflow 0
		.amdhsa_memory_ordered 1
		.amdhsa_forward_progress 1
		.amdhsa_inst_pref_size 16
		.amdhsa_round_robin_scheduling 0
		.amdhsa_exception_fp_ieee_invalid_op 0
		.amdhsa_exception_fp_denorm_src 0
		.amdhsa_exception_fp_ieee_div_zero 0
		.amdhsa_exception_fp_ieee_overflow 0
		.amdhsa_exception_fp_ieee_underflow 0
		.amdhsa_exception_fp_ieee_inexact 0
		.amdhsa_exception_int_div_zero 0
	.end_amdhsa_kernel
	.section	.text._Z15mergeSinglePathImLb0ELb0EEvPKT_jS2_jPKjPS0_j,"axG",@progbits,_Z15mergeSinglePathImLb0ELb0EEvPKT_jS2_jPKjPS0_j,comdat
.Lfunc_end5:
	.size	_Z15mergeSinglePathImLb0ELb0EEvPKT_jS2_jPKjPS0_j, .Lfunc_end5-_Z15mergeSinglePathImLb0ELb0EEvPKT_jS2_jPKjPS0_j
                                        ; -- End function
	.set _Z15mergeSinglePathImLb0ELb0EEvPKT_jS2_jPKjPS0_j.num_vgpr, 46
	.set _Z15mergeSinglePathImLb0ELb0EEvPKT_jS2_jPKjPS0_j.num_agpr, 0
	.set _Z15mergeSinglePathImLb0ELb0EEvPKT_jS2_jPKjPS0_j.numbered_sgpr, 19
	.set _Z15mergeSinglePathImLb0ELb0EEvPKT_jS2_jPKjPS0_j.num_named_barrier, 0
	.set _Z15mergeSinglePathImLb0ELb0EEvPKT_jS2_jPKjPS0_j.private_seg_size, 0
	.set _Z15mergeSinglePathImLb0ELb0EEvPKT_jS2_jPKjPS0_j.uses_vcc, 1
	.set _Z15mergeSinglePathImLb0ELb0EEvPKT_jS2_jPKjPS0_j.uses_flat_scratch, 0
	.set _Z15mergeSinglePathImLb0ELb0EEvPKT_jS2_jPKjPS0_j.has_dyn_sized_stack, 0
	.set _Z15mergeSinglePathImLb0ELb0EEvPKT_jS2_jPKjPS0_j.has_recursion, 0
	.set _Z15mergeSinglePathImLb0ELb0EEvPKT_jS2_jPKjPS0_j.has_indirect_call, 0
	.section	.AMDGPU.csdata,"",@progbits
; Kernel info:
; codeLenInByte = 2012
; TotalNumSgprs: 21
; NumVgprs: 46
; ScratchSize: 0
; MemoryBound: 0
; FloatMode: 240
; IeeeMode: 1
; LDSByteSize: 8240 bytes/workgroup (compile time only)
; SGPRBlocks: 0
; VGPRBlocks: 2
; NumSGPRsForWavesPerEU: 21
; NumVGPRsForWavesPerEU: 46
; NamedBarCnt: 0
; Occupancy: 16
; WaveLimiterHint : 1
; COMPUTE_PGM_RSRC2:SCRATCH_EN: 0
; COMPUTE_PGM_RSRC2:USER_SGPR: 2
; COMPUTE_PGM_RSRC2:TRAP_HANDLER: 0
; COMPUTE_PGM_RSRC2:TGID_X_EN: 1
; COMPUTE_PGM_RSRC2:TGID_Y_EN: 0
; COMPUTE_PGM_RSRC2:TGID_Z_EN: 0
; COMPUTE_PGM_RSRC2:TIDIG_COMP_CNT: 0
	.section	.text._Z17workloadDiagonalsIdEvPKT_jS2_jPj,"axG",@progbits,_Z17workloadDiagonalsIdEvPKT_jS2_jPj,comdat
	.protected	_Z17workloadDiagonalsIdEvPKT_jS2_jPj ; -- Begin function _Z17workloadDiagonalsIdEvPKT_jS2_jPj
	.globl	_Z17workloadDiagonalsIdEvPKT_jS2_jPj
	.p2align	8
	.type	_Z17workloadDiagonalsIdEvPKT_jS2_jPj,@function
_Z17workloadDiagonalsIdEvPKT_jS2_jPj:   ; @_Z17workloadDiagonalsIdEvPKT_jS2_jPj
; %bb.0:
	s_clause 0x2
	s_load_b96 s[12:14], s[0:1], 0x0
	s_load_b96 s[8:10], s[0:1], 0x10
	s_load_b64 s[6:7], s[0:1], 0x20
	v_cmp_ne_u32_e64 s2, 0, v0
	s_mov_b32 s5, 0
	s_getreg_b32 s3, hwreg(HW_REG_IB_STS2, 6, 4)
	s_mov_b32 s11, exec_lo
	v_cmpx_eq_u32_e32 0, v0
	s_cbranch_execz .LBB6_5
; %bb.1:
	s_bfe_u32 s4, ttmp6, 0x4000c
	s_and_b32 s15, ttmp6, 15
	s_add_co_i32 s4, s4, 1
	s_wait_kmcnt 0x0
	s_mov_b32 s16, s14
	s_mul_i32 s4, ttmp9, s4
	s_mov_b32 s17, s5
	s_add_co_i32 s15, s15, s4
	s_cmp_eq_u32 s3, 0
	s_mov_b32 s18, s10
	s_mov_b32 s19, s5
	s_cselect_b32 s4, ttmp9, s15
	s_add_nc_u64 s[16:17], s[18:19], s[16:17]
	s_delay_alu instid0(SALU_CYCLE_1) | instskip(SKIP_2) | instid1(SALU_CYCLE_1)
	s_mul_u64 s[16:17], s[16:17], s[4:5]
	s_load_b32 s4, s[0:1], 0x28
	s_and_b64 s[18:19], s[16:17], 0xffffffff00000000
	s_cmp_lg_u64 s[18:19], 0
	s_cbranch_scc0 .LBB6_23
; %bb.2:
	s_wait_kmcnt 0x0
	s_cvt_f32_u32 s15, s4
	s_sub_nc_u64 s[22:23], 0, s[4:5]
	s_mov_b32 s19, 0
	s_delay_alu instid0(SALU_CYCLE_1) | instskip(NEXT) | instid1(SALU_CYCLE_3)
	s_fmamk_f32 s15, 0, 0x4f800000, s15
	v_s_rcp_f32 s15, s15
	s_delay_alu instid0(TRANS32_DEP_1) | instskip(NEXT) | instid1(SALU_CYCLE_3)
	s_mul_f32 s15, s15, 0x5f7ffffc
	s_mul_f32 s18, s15, 0x2f800000
	s_delay_alu instid0(SALU_CYCLE_3) | instskip(NEXT) | instid1(SALU_CYCLE_3)
	s_trunc_f32 s18, s18
	s_fmamk_f32 s15, s18, 0xcf800000, s15
	s_cvt_u32_f32 s21, s18
	s_delay_alu instid0(SALU_CYCLE_2) | instskip(NEXT) | instid1(SALU_CYCLE_3)
	s_cvt_u32_f32 s20, s15
	s_mul_u64 s[24:25], s[22:23], s[20:21]
	s_delay_alu instid0(SALU_CYCLE_1)
	s_mul_hi_u32 s27, s20, s25
	s_mul_i32 s26, s20, s25
	s_mul_hi_u32 s18, s20, s24
	s_mul_i32 s28, s21, s24
	s_add_nc_u64 s[26:27], s[18:19], s[26:27]
	s_mul_hi_u32 s15, s21, s24
	s_mul_hi_u32 s29, s21, s25
	s_add_co_u32 s18, s26, s28
	s_add_co_ci_u32 s18, s27, s15
	s_mul_i32 s24, s21, s25
	s_add_co_ci_u32 s25, s29, 0
	s_delay_alu instid0(SALU_CYCLE_1) | instskip(NEXT) | instid1(SALU_CYCLE_1)
	s_add_nc_u64 s[24:25], s[18:19], s[24:25]
	s_add_co_u32 s20, s20, s24
	s_cselect_b32 s15, -1, 0
	s_delay_alu instid0(SALU_CYCLE_1) | instskip(SKIP_1) | instid1(SALU_CYCLE_1)
	s_cmp_lg_u32 s15, 0
	s_add_co_ci_u32 s21, s21, s25
	s_mul_u64 s[22:23], s[22:23], s[20:21]
	s_delay_alu instid0(SALU_CYCLE_1)
	s_mul_hi_u32 s25, s20, s23
	s_mul_i32 s24, s20, s23
	s_mul_hi_u32 s18, s20, s22
	s_mul_i32 s26, s21, s22
	s_add_nc_u64 s[24:25], s[18:19], s[24:25]
	s_mul_hi_u32 s15, s21, s22
	s_mul_hi_u32 s27, s21, s23
	s_add_co_u32 s18, s24, s26
	s_add_co_ci_u32 s18, s25, s15
	s_mul_i32 s22, s21, s23
	s_add_co_ci_u32 s23, s27, 0
	s_delay_alu instid0(SALU_CYCLE_1) | instskip(NEXT) | instid1(SALU_CYCLE_1)
	s_add_nc_u64 s[22:23], s[18:19], s[22:23]
	s_add_co_u32 s15, s20, s22
	s_cselect_b32 s20, -1, 0
	s_mul_hi_u32 s18, s16, s15
	s_cmp_lg_u32 s20, 0
	s_mul_hi_u32 s24, s17, s15
	s_add_co_ci_u32 s22, s21, s23
	s_mul_i32 s15, s17, s15
	s_mul_hi_u32 s21, s16, s22
	s_mul_i32 s20, s16, s22
	s_mul_hi_u32 s23, s17, s22
	s_add_nc_u64 s[20:21], s[18:19], s[20:21]
	s_mul_i32 s22, s17, s22
	s_add_co_u32 s15, s20, s15
	s_add_co_ci_u32 s18, s21, s24
	s_add_co_ci_u32 s23, s23, 0
	s_delay_alu instid0(SALU_CYCLE_1) | instskip(NEXT) | instid1(SALU_CYCLE_1)
	s_add_nc_u64 s[20:21], s[18:19], s[22:23]
	s_and_b64 s[22:23], s[20:21], 0xffffffff00000000
	s_delay_alu instid0(SALU_CYCLE_1) | instskip(NEXT) | instid1(SALU_CYCLE_1)
	s_or_b32 s22, s22, s20
	s_mul_u64 s[20:21], s[4:5], s[22:23]
	s_add_nc_u64 s[24:25], s[22:23], 2
	s_sub_co_u32 s5, s16, s20
	s_cselect_b32 s15, -1, 0
	s_delay_alu instid0(SALU_CYCLE_1)
	s_cmp_lg_u32 s15, 0
	s_sub_co_ci_u32 s15, s17, s21
	s_sub_co_u32 s17, s5, s4
	s_cselect_b32 s18, -1, 0
	s_add_nc_u64 s[20:21], s[22:23], 1
	s_cmp_lg_u32 s18, 0
	s_sub_co_ci_u32 s18, s15, 0
	s_cmp_ge_u32 s17, s4
	s_cselect_b32 s17, -1, 0
	s_cmp_eq_u32 s18, 0
	s_cselect_b32 s17, s17, -1
	s_delay_alu instid0(SALU_CYCLE_1)
	s_cmp_lg_u32 s17, 0
	s_cselect_b32 s17, s24, s20
	s_cmp_ge_u32 s5, s4
	s_cselect_b32 s5, -1, 0
	s_cmp_eq_u32 s15, 0
	s_cselect_b32 s5, s5, -1
	s_delay_alu instid0(SALU_CYCLE_1)
	s_cmp_lg_u32 s5, 0
	s_cselect_b32 s20, s17, s22
	s_cbranch_execnz .LBB6_4
.LBB6_3:
	s_wait_kmcnt 0x0
	v_cvt_f32_u32_e32 v1, s4
	s_sub_co_i32 s15, 0, s4
	s_delay_alu instid0(VALU_DEP_1) | instskip(SKIP_1) | instid1(TRANS32_DEP_1)
	v_rcp_iflag_f32_e32 v1, v1
	v_nop
	v_mul_f32_e32 v1, 0x4f7ffffe, v1
	s_delay_alu instid0(VALU_DEP_1) | instskip(NEXT) | instid1(VALU_DEP_1)
	v_cvt_u32_f32_e32 v1, v1
	v_readfirstlane_b32 s5, v1
	s_mul_i32 s15, s15, s5
	s_delay_alu instid0(SALU_CYCLE_1) | instskip(NEXT) | instid1(SALU_CYCLE_1)
	s_mul_hi_u32 s15, s5, s15
	s_add_co_i32 s5, s5, s15
	s_delay_alu instid0(SALU_CYCLE_1) | instskip(NEXT) | instid1(SALU_CYCLE_1)
	s_mul_hi_u32 s5, s16, s5
	s_mul_i32 s15, s5, s4
	s_delay_alu instid0(SALU_CYCLE_1)
	s_sub_co_i32 s15, s16, s15
	s_add_co_i32 s16, s5, 1
	s_sub_co_i32 s17, s15, s4
	s_cmp_ge_u32 s15, s4
	s_cselect_b32 s5, s16, s5
	s_cselect_b32 s15, s17, s15
	s_add_co_i32 s16, s5, 1
	s_cmp_ge_u32 s15, s4
	s_cselect_b32 s20, s16, s5
.LBB6_4:
	s_wait_kmcnt 0x0
	s_mov_b64 s[4:5], src_shared_base
	s_min_u32 s4, s14, s20
	s_delay_alu instid0(SALU_CYCLE_1)
	v_dual_mov_b32 v1, 0 :: v_dual_mov_b32 v2, s4
	v_sub_nc_u32_e64 v3, s20, s14 clamp
	s_movk_i32 s4, 0x84
	s_movk_i32 s16, 0x88
	s_mov_b32 s17, s5
	flat_store_b32 v1, v2, s[4:5] scope:SCOPE_SYS
	s_wait_storecnt 0x0
	flat_store_b32 v1, v3, s[16:17] scope:SCOPE_SYS
	s_wait_storecnt 0x0
	flat_load_b32 v2, v1, s[16:17] scope:SCOPE_SYS
	s_wait_loadcnt 0x0
	s_wait_xcnt 0x0
	s_movk_i32 s16, 0x8c
	s_wait_dscnt 0x0
	flat_store_b32 v1, v2, s[16:17] scope:SCOPE_SYS
	s_wait_storecnt 0x0
	flat_load_b32 v2, v1, s[4:5] scope:SCOPE_SYS
	s_wait_loadcnt 0x0
	s_wait_xcnt 0x0
	s_movk_i32 s4, 0x90
	s_wait_dscnt 0x0
	flat_store_b32 v1, v2, s[4:5] scope:SCOPE_SYS
	s_wait_storecnt 0x0
	s_wait_xcnt 0x0
	s_movk_i32 s4, 0x80
	flat_store_b32 v1, v1, s[4:5] scope:SCOPE_SYS
	s_wait_storecnt 0x0
.LBB6_5:
	s_wait_xcnt 0x0
	s_or_b32 exec_lo, exec_lo, s11
	v_mov_b32_e32 v1, 0
	s_mov_b64 s[4:5], src_shared_base
	s_movk_i32 s4, 0x80
	s_wait_dscnt 0x0
	s_barrier_signal -1
	s_barrier_wait -1
	flat_load_b32 v1, v1, s[4:5] scope:SCOPE_SYS
	s_wait_loadcnt 0x0
	s_wait_xcnt 0x0
	s_mov_b32 s4, exec_lo
                                        ; implicit-def: $sgpr11
	s_wait_dscnt 0x0
	v_cmpx_ne_u32_e32 0, v1
	s_xor_b32 s4, exec_lo, s4
; %bb.6:
	s_bfe_u32 s5, ttmp6, 0x4000c
	s_and_b32 s11, ttmp6, 15
	s_add_co_i32 s5, s5, 1
	s_delay_alu instid0(SALU_CYCLE_1) | instskip(NEXT) | instid1(SALU_CYCLE_1)
	s_mul_i32 s5, ttmp9, s5
	s_add_co_i32 s11, s11, s5
	s_cmp_eq_u32 s3, 0
	s_cselect_b32 s11, ttmp9, s11
; %bb.7:
	s_or_saveexec_b32 s5, s4
	v_mov_b32_e32 v1, s11
	s_xor_b32 exec_lo, exec_lo, s5
	s_cbranch_execz .LBB6_20
; %bb.8:
	s_bfe_u32 s4, ttmp6, 0x4000c
	s_and_b32 s11, ttmp6, 15
	s_add_co_i32 s4, s4, 1
	v_dual_lshlrev_b32 v1, 2, v0 :: v_dual_add_nc_u32 v2, -16, v0
	s_mul_i32 s4, ttmp9, s4
	s_mov_b32 s19, 0
	s_add_co_i32 s11, s11, s4
	s_cmp_eq_u32 s3, 0
	v_dual_mov_b32 v4, 0 :: v_dual_add_nc_u32 v3, -4, v1
	s_cselect_b32 s18, ttmp9, s11
	v_dual_mov_b32 v5, 1 :: v_dual_mov_b32 v6, 0x84
	v_mov_b32_e32 v7, 0x88
	s_mov_b64 s[16:17], src_shared_base
	s_lshl_b64 s[20:21], s[18:19], 2
	s_add_nc_u64 s[22:23], s[0:1], 40
	s_wait_kmcnt 0x0
	s_add_nc_u64 s[20:21], s[6:7], s[20:21]
	s_add_co_i32 s11, s18, 1
	s_movk_i32 s24, 0x84
	s_mov_b32 s25, s17
	s_movk_i32 s26, 0x8c
	s_mov_b32 s27, s17
	;; [unrolled: 2-line block ×4, first 2 shown]
	s_movk_i32 s16, 0x80
	v_cmp_eq_u32_e32 vcc_lo, 16, v0
	s_branch .LBB6_10
.LBB6_9:                                ;   in Loop: Header=BB6_10 Depth=1
	s_wait_xcnt 0x0
	s_or_b32 exec_lo, exec_lo, s4
	s_wait_dscnt 0x0
	s_barrier_signal -1
	s_barrier_wait -1
	flat_load_b32 v8, v4, s[16:17] scope:SCOPE_SYS
	s_wait_loadcnt_dscnt 0x0
	v_cmp_ne_u32_e64 s3, 0, v8
	s_or_b32 s19, s3, s19
	s_delay_alu instid0(SALU_CYCLE_1)
	s_and_not1_b32 exec_lo, exec_lo, s19
	s_cbranch_execz .LBB6_19
.LBB6_10:                               ; =>This Inner Loop Header: Depth=1
	flat_load_b32 v8, v4, s[24:25] scope:SCOPE_SYS
	s_wait_loadcnt 0x0
	flat_load_b32 v9, v4, s[24:25] scope:SCOPE_SYS
	s_wait_loadcnt 0x0
	flat_load_b32 v10, v4, s[26:27] scope:SCOPE_SYS
	s_wait_loadcnt 0x0
	flat_load_b32 v11, v4, s[28:29] scope:SCOPE_SYS
	s_wait_loadcnt 0x0
	flat_load_b32 v12, v4, s[30:31] scope:SCOPE_SYS
	s_wait_loadcnt 0x0
	flat_load_b32 v13, v4, s[28:29] scope:SCOPE_SYS
	s_wait_loadcnt_dscnt 0x0
	v_dual_sub_nc_u32 v9, v9, v10 :: v_dual_sub_nc_u32 v10, v12, v13
	s_delay_alu instid0(VALU_DEP_1) | instskip(NEXT) | instid1(VALU_DEP_1)
	v_ashrrev_i32_e32 v9, 1, v9
	v_add_nc_u32_e32 v9, v0, v9
	s_delay_alu instid0(VALU_DEP_1) | instskip(NEXT) | instid1(VALU_DEP_1)
	v_dual_sub_nc_u32 v8, v8, v9 :: v_dual_ashrrev_i32 v9, 1, v10
	v_dual_mov_b32 v10, 0 :: v_dual_add_nc_u32 v8, 16, v8
	s_delay_alu instid0(VALU_DEP_2) | instskip(NEXT) | instid1(VALU_DEP_2)
	v_add3_u32 v9, v11, v2, v9
	v_cmp_gt_i32_e64 s3, s14, v8
	s_delay_alu instid0(VALU_DEP_2) | instskip(SKIP_1) | instid1(SALU_CYCLE_1)
	v_cmp_lt_i32_e64 s4, -1, v9
	s_and_b32 s3, s3, s4
	s_and_saveexec_b32 s15, s3
	s_cbranch_execz .LBB6_14
; %bb.11:                               ;   in Loop: Header=BB6_10 Depth=1
	v_cmp_gt_i32_e64 s3, s10, v9
	v_cmp_lt_i32_e64 s4, 0, v8
	v_mov_b32_e32 v10, 1
	s_and_b32 s3, s4, s3
	s_delay_alu instid0(SALU_CYCLE_1)
	s_and_saveexec_b32 s4, s3
	s_cbranch_execz .LBB6_13
; %bb.12:                               ;   in Loop: Header=BB6_10 Depth=1
	global_load_b64 v[10:11], v8, s[12:13] offset:-8 scale_offset
	global_load_b64 v[12:13], v9, s[8:9] scale_offset
	s_wait_loadcnt 0x0
	v_cmp_le_f64_e64 s3, v[10:11], v[12:13]
	s_delay_alu instid0(VALU_DEP_1)
	v_cndmask_b32_e64 v10, 0, 1, s3
.LBB6_13:                               ;   in Loop: Header=BB6_10 Depth=1
	s_or_b32 exec_lo, exec_lo, s4
.LBB6_14:                               ;   in Loop: Header=BB6_10 Depth=1
	s_delay_alu instid0(SALU_CYCLE_1)
	s_or_b32 exec_lo, exec_lo, s15
	ds_store_b32 v1, v10
	s_wait_dscnt 0x0
	s_barrier_signal -1
	s_barrier_wait -1
	s_and_saveexec_b32 s4, s2
	s_cbranch_execz .LBB6_17
; %bb.15:                               ;   in Loop: Header=BB6_10 Depth=1
	ds_load_2addr_b32 v[10:11], v3 offset1:1
	s_wait_dscnt 0x0
	v_cmp_ne_u32_e64 s3, v11, v10
	s_and_b32 exec_lo, exec_lo, s3
	s_cbranch_execz .LBB6_17
; %bb.16:                               ;   in Loop: Header=BB6_10 Depth=1
	flat_store_b32 v4, v5, s[16:17] scope:SCOPE_SYS
	s_wait_storecnt 0x0
	s_load_b32 s3, s[22:23], 0x0
	s_wait_kmcnt 0x0
	s_add_co_i32 s3, s11, s3
	s_delay_alu instid0(SALU_CYCLE_1)
	v_mov_b32_e32 v10, s3
	s_clause 0x1
	global_store_b32 v4, v8, s[20:21]
	global_store_b32 v10, v9, s[6:7] scale_offset
.LBB6_17:                               ;   in Loop: Header=BB6_10 Depth=1
	s_wait_xcnt 0x0
	s_or_b32 exec_lo, exec_lo, s4
	s_wait_storecnt_dscnt 0x0
	s_barrier_signal -1
	s_barrier_wait -1
	s_and_saveexec_b32 s4, vcc_lo
	s_cbranch_execz .LBB6_9
; %bb.18:                               ;   in Loop: Header=BB6_10 Depth=1
	ds_load_b32 v10, v4 offset:124
	v_dual_mov_b32 v11, s17 :: v_dual_mov_b32 v13, s17
	s_wait_dscnt 0x0
	v_cmp_eq_u32_e64 s3, 0, v10
	s_delay_alu instid0(VALU_DEP_1)
	v_cndmask_b32_e64 v10, 0x8c, v6, s3
	v_cndmask_b32_e64 v12, 0x90, v7, s3
	flat_store_b32 v[10:11], v8 scope:SCOPE_SYS
	s_wait_storecnt 0x0
	flat_store_b32 v[12:13], v9 scope:SCOPE_SYS
	s_wait_storecnt 0x0
	s_branch .LBB6_9
.LBB6_19:
	s_or_b32 exec_lo, exec_lo, s19
	v_mov_b32_e32 v1, s18
.LBB6_20:
	s_or_b32 exec_lo, exec_lo, s5
	s_delay_alu instid0(VALU_DEP_1) | instskip(SKIP_1) | instid1(VALU_DEP_1)
	v_or_b32_e32 v0, v0, v1
	s_mov_b32 s2, exec_lo
	v_cmpx_eq_u32_e32 0, v0
	s_cbranch_execz .LBB6_22
; %bb.21:
	s_load_b32 s0, s[0:1], 0x28
	s_wait_kmcnt 0x0
	v_dual_mov_b32 v0, 0 :: v_dual_mov_b32 v1, s14
	s_add_co_i32 s1, s0, 1
	s_delay_alu instid0(SALU_CYCLE_1) | instskip(SKIP_1) | instid1(SALU_CYCLE_1)
	v_dual_mov_b32 v2, s10 :: v_dual_mov_b32 v3, s1
	s_lshl_b32 s2, s0, 1
	v_dual_mov_b32 v4, s0 :: v_dual_mov_b32 v5, s2
	s_clause 0x3
	global_store_b32 v0, v0, s[6:7]
	global_store_b32 v3, v0, s[6:7] scale_offset
	global_store_b32 v4, v1, s[6:7] scale_offset
	global_store_b32 v5, v2, s[6:7] offset:4 scale_offset
.LBB6_22:
	s_endpgm
.LBB6_23:
                                        ; implicit-def: $sgpr20_sgpr21
	s_branch .LBB6_3
	.section	.rodata,"a",@progbits
	.p2align	6, 0x0
	.amdhsa_kernel _Z17workloadDiagonalsIdEvPKT_jS2_jPj
		.amdhsa_group_segment_fixed_size 148
		.amdhsa_private_segment_fixed_size 0
		.amdhsa_kernarg_size 296
		.amdhsa_user_sgpr_count 2
		.amdhsa_user_sgpr_dispatch_ptr 0
		.amdhsa_user_sgpr_queue_ptr 0
		.amdhsa_user_sgpr_kernarg_segment_ptr 1
		.amdhsa_user_sgpr_dispatch_id 0
		.amdhsa_user_sgpr_kernarg_preload_length 0
		.amdhsa_user_sgpr_kernarg_preload_offset 0
		.amdhsa_user_sgpr_private_segment_size 0
		.amdhsa_wavefront_size32 1
		.amdhsa_uses_dynamic_stack 0
		.amdhsa_enable_private_segment 0
		.amdhsa_system_sgpr_workgroup_id_x 1
		.amdhsa_system_sgpr_workgroup_id_y 0
		.amdhsa_system_sgpr_workgroup_id_z 0
		.amdhsa_system_sgpr_workgroup_info 0
		.amdhsa_system_vgpr_workitem_id 0
		.amdhsa_next_free_vgpr 14
		.amdhsa_next_free_sgpr 32
		.amdhsa_named_barrier_count 0
		.amdhsa_reserve_vcc 1
		.amdhsa_float_round_mode_32 0
		.amdhsa_float_round_mode_16_64 0
		.amdhsa_float_denorm_mode_32 3
		.amdhsa_float_denorm_mode_16_64 3
		.amdhsa_fp16_overflow 0
		.amdhsa_memory_ordered 1
		.amdhsa_forward_progress 1
		.amdhsa_inst_pref_size 15
		.amdhsa_round_robin_scheduling 0
		.amdhsa_exception_fp_ieee_invalid_op 0
		.amdhsa_exception_fp_denorm_src 0
		.amdhsa_exception_fp_ieee_div_zero 0
		.amdhsa_exception_fp_ieee_overflow 0
		.amdhsa_exception_fp_ieee_underflow 0
		.amdhsa_exception_fp_ieee_inexact 0
		.amdhsa_exception_int_div_zero 0
	.end_amdhsa_kernel
	.section	.text._Z17workloadDiagonalsIdEvPKT_jS2_jPj,"axG",@progbits,_Z17workloadDiagonalsIdEvPKT_jS2_jPj,comdat
.Lfunc_end6:
	.size	_Z17workloadDiagonalsIdEvPKT_jS2_jPj, .Lfunc_end6-_Z17workloadDiagonalsIdEvPKT_jS2_jPj
                                        ; -- End function
	.set _Z17workloadDiagonalsIdEvPKT_jS2_jPj.num_vgpr, 14
	.set _Z17workloadDiagonalsIdEvPKT_jS2_jPj.num_agpr, 0
	.set _Z17workloadDiagonalsIdEvPKT_jS2_jPj.numbered_sgpr, 32
	.set _Z17workloadDiagonalsIdEvPKT_jS2_jPj.num_named_barrier, 0
	.set _Z17workloadDiagonalsIdEvPKT_jS2_jPj.private_seg_size, 0
	.set _Z17workloadDiagonalsIdEvPKT_jS2_jPj.uses_vcc, 1
	.set _Z17workloadDiagonalsIdEvPKT_jS2_jPj.uses_flat_scratch, 0
	.set _Z17workloadDiagonalsIdEvPKT_jS2_jPj.has_dyn_sized_stack, 0
	.set _Z17workloadDiagonalsIdEvPKT_jS2_jPj.has_recursion, 0
	.set _Z17workloadDiagonalsIdEvPKT_jS2_jPj.has_indirect_call, 0
	.section	.AMDGPU.csdata,"",@progbits
; Kernel info:
; codeLenInByte = 1868
; TotalNumSgprs: 34
; NumVgprs: 14
; ScratchSize: 0
; MemoryBound: 0
; FloatMode: 240
; IeeeMode: 1
; LDSByteSize: 148 bytes/workgroup (compile time only)
; SGPRBlocks: 0
; VGPRBlocks: 0
; NumSGPRsForWavesPerEU: 34
; NumVGPRsForWavesPerEU: 14
; NamedBarCnt: 0
; Occupancy: 16
; WaveLimiterHint : 1
; COMPUTE_PGM_RSRC2:SCRATCH_EN: 0
; COMPUTE_PGM_RSRC2:USER_SGPR: 2
; COMPUTE_PGM_RSRC2:TRAP_HANDLER: 0
; COMPUTE_PGM_RSRC2:TGID_X_EN: 1
; COMPUTE_PGM_RSRC2:TGID_Y_EN: 0
; COMPUTE_PGM_RSRC2:TGID_Z_EN: 0
; COMPUTE_PGM_RSRC2:TIDIG_COMP_CNT: 0
	.section	.text._Z15mergeSinglePathIdLb0ELb0EEvPKT_jS2_jPKjPS0_j,"axG",@progbits,_Z15mergeSinglePathIdLb0ELb0EEvPKT_jS2_jPKjPS0_j,comdat
	.protected	_Z15mergeSinglePathIdLb0ELb0EEvPKT_jS2_jPKjPS0_j ; -- Begin function _Z15mergeSinglePathIdLb0ELb0EEvPKT_jS2_jPKjPS0_j
	.globl	_Z15mergeSinglePathIdLb0ELb0EEvPKT_jS2_jPKjPS0_j
	.p2align	8
	.type	_Z15mergeSinglePathIdLb0ELb0EEvPKT_jS2_jPKjPS0_j,@function
_Z15mergeSinglePathIdLb0ELb0EEvPKT_jS2_jPKjPS0_j: ; @_Z15mergeSinglePathIdLb0ELb0EEvPKT_jS2_jPKjPS0_j
; %bb.0:
	s_clause 0x2
	s_load_b64 s[8:9], s[0:1], 0x0
	s_load_b64 s[10:11], s[0:1], 0x10
	s_load_b128 s[4:7], s[0:1], 0x20
	v_alignbit_b32 v1, v0, v0, 5
	s_mov_b32 s2, exec_lo
	s_delay_alu instid0(VALU_DEP_1)
	v_cmpx_lt_i32_e32 1, v1
	s_xor_b32 s2, exec_lo, s2
	s_cbranch_execz .LBB7_8
; %bb.1:
	s_mov_b32 s3, exec_lo
	v_cmpx_lt_i32_e32 2, v1
	s_xor_b32 s3, exec_lo, s3
	s_cbranch_execz .LBB7_5
; %bb.2:
	s_mov_b32 s12, exec_lo
	v_cmpx_eq_u32_e32 3, v1
	s_cbranch_execz .LBB7_4
; %bb.3:
	s_load_b32 s13, s[0:1], 0x38
	s_mov_b64 s[14:15], src_shared_base
	s_bfe_u32 s14, ttmp6, 0x4000c
	s_and_b32 s16, ttmp6, 15
	s_add_co_i32 s14, s14, 1
	s_getreg_b32 s17, hwreg(HW_REG_IB_STS2, 6, 4)
	s_mul_i32 s14, ttmp9, s14
	v_mov_b64_e32 v[2:3], 0x7fefffffffffffff
	s_add_co_i32 s16, s16, s14
	s_cmp_eq_u32 s17, 0
	s_cselect_b32 s14, ttmp9, s16
	s_wait_kmcnt 0x0
	s_add_co_i32 s13, s14, s13
	s_movk_i32 s14, 0x202c
	s_add_co_i32 s13, s13, 2
	s_load_b32 s13, s[4:5], s13 offset:0x0 scale_offset
	s_wait_kmcnt 0x0
	v_dual_mov_b32 v1, 0 :: v_dual_mov_b32 v4, s13
	flat_store_b32 v1, v4, s[14:15] scope:SCOPE_SYS
	s_wait_storecnt 0x0
	ds_store_b64 v1, v[2:3] offset:8216
.LBB7_4:
	s_wait_xcnt 0x0
	s_or_b32 exec_lo, exec_lo, s12
.LBB7_5:
	s_and_not1_saveexec_b32 s3, s3
	s_cbranch_execz .LBB7_7
; %bb.6:
	s_mov_b64 s[12:13], src_shared_base
	s_load_b32 s12, s[0:1], 0x38
	s_bfe_u32 s14, ttmp6, 0x4000c
	s_and_b32 s15, ttmp6, 15
	s_add_co_i32 s14, s14, 1
	s_getreg_b32 s16, hwreg(HW_REG_IB_STS2, 6, 4)
	s_mul_i32 s14, ttmp9, s14
	v_mov_b64_e32 v[2:3], 0x7fefffffffffffff
	s_add_co_i32 s15, s15, s14
	s_cmp_eq_u32 s16, 0
	s_cselect_b32 s14, ttmp9, s15
	s_wait_kmcnt 0x0
	s_add_co_i32 s12, s14, s12
	s_delay_alu instid0(SALU_CYCLE_1)
	s_add_co_i32 s12, s12, 1
	s_load_b32 s12, s[4:5], s12 offset:0x0 scale_offset
	s_wait_kmcnt 0x0
	v_dual_mov_b32 v1, 0 :: v_dual_mov_b32 v4, s12
	s_movk_i32 s12, 0x2024
	flat_store_b32 v1, v4, s[12:13] scope:SCOPE_SYS
	s_wait_storecnt 0x0
	ds_store_b64 v1, v[2:3] offset:4104
.LBB7_7:
	s_wait_xcnt 0x0
	s_or_b32 exec_lo, exec_lo, s3
                                        ; implicit-def: $vgpr1
.LBB7_8:
	s_and_not1_saveexec_b32 s2, s2
	s_cbranch_execz .LBB7_16
; %bb.9:
	s_mov_b32 s3, exec_lo
	v_cmpx_lt_i32_e32 0, v1
	s_xor_b32 s3, exec_lo, s3
	s_cbranch_execz .LBB7_11
; %bb.10:
	s_mov_b64 s[12:13], src_shared_base
	s_bfe_u32 s12, ttmp6, 0x4000c
	s_and_b32 s14, ttmp6, 15
	s_add_co_i32 s12, s12, 1
	s_getreg_b32 s15, hwreg(HW_REG_IB_STS2, 6, 4)
	s_mul_i32 s12, ttmp9, s12
	v_mov_b64_e32 v[2:3], 0x10000000000000
	s_add_co_i32 s14, s14, s12
	s_cmp_eq_u32 s15, 0
	s_cselect_b32 s12, ttmp9, s14
	s_delay_alu instid0(SALU_CYCLE_1)
	s_add_co_i32 s12, s12, 1
	s_wait_kmcnt 0x0
	s_load_b32 s12, s[4:5], s12 offset:0x0 scale_offset
	s_wait_kmcnt 0x0
	v_dual_mov_b32 v1, 0 :: v_dual_mov_b32 v4, s12
	s_movk_i32 s12, 0x2028
	flat_store_b32 v1, v4, s[12:13] scope:SCOPE_SYS
	s_wait_storecnt 0x0
	ds_store_b64 v1, v[2:3] offset:4112
                                        ; implicit-def: $vgpr1
.LBB7_11:
	s_wait_xcnt 0x0
	s_and_not1_saveexec_b32 s3, s3
	s_cbranch_execz .LBB7_15
; %bb.12:
	s_mov_b32 s12, exec_lo
	v_cmpx_eq_u32_e32 0, v1
	s_cbranch_execz .LBB7_14
; %bb.13:
	s_bfe_u32 s13, ttmp6, 0x4000c
	s_mov_b64 s[14:15], src_shared_base
	s_add_co_i32 s13, s13, 1
	s_and_b32 s14, ttmp6, 15
	s_mul_i32 s13, ttmp9, s13
	s_getreg_b32 s16, hwreg(HW_REG_IB_STS2, 6, 4)
	s_add_co_i32 s14, s14, s13
	s_cmp_eq_u32 s16, 0
	v_mov_b64_e32 v[2:3], 0x10000000000000
	s_cselect_b32 s13, ttmp9, s14
	s_movk_i32 s14, 0x2020
	s_wait_kmcnt 0x0
	s_load_b32 s4, s[4:5], s13 offset:0x0 scale_offset
	s_wait_kmcnt 0x0
	v_dual_mov_b32 v1, 0 :: v_dual_mov_b32 v4, s4
	flat_store_b32 v1, v4, s[14:15] scope:SCOPE_SYS
	s_wait_storecnt 0x0
	ds_store_b64 v1, v[2:3]
.LBB7_14:
	s_wait_xcnt 0x0
	s_or_b32 exec_lo, exec_lo, s12
.LBB7_15:
	s_delay_alu instid0(SALU_CYCLE_1)
	s_or_b32 exec_lo, exec_lo, s3
.LBB7_16:
	s_delay_alu instid0(SALU_CYCLE_1)
	s_or_b32 exec_lo, exec_lo, s2
	v_dual_lshlrev_b32 v4, 2, v0 :: v_dual_lshlrev_b32 v5, 1, v0
	v_mov_b32_e32 v7, 0
	s_mov_b64 s[2:3], src_shared_base
	s_wait_kmcnt 0x0
	s_add_nc_u64 s[4:5], s[0:1], 56
	v_or_b32_e32 v22, 2, v4
	v_dual_mov_b32 v9, v7 :: v_dual_lshlrev_b32 v8, 3, v0
	v_dual_lshlrev_b32 v14, 3, v4 :: v_dual_bitop2_b32 v23, 1, v5 bitop3:0x54
	s_mov_b32 s1, 0
	s_delay_alu instid0(VALU_DEP_2) | instskip(NEXT) | instid1(VALU_DEP_3)
	v_mad_u32_u24 v24, v0, 24, v8
	v_add_nc_u64_e32 v[10:11], s[8:9], v[8:9]
	v_add_nc_u64_e32 v[12:13], s[10:11], v[8:9]
	s_movk_i32 s8, 0x2020
	s_mov_b32 s9, s3
	s_movk_i32 s10, 0x2028
	s_mov_b32 s11, s3
	s_movk_i32 s2, 0x2024
	s_movk_i32 s12, 0x202c
	s_mov_b32 s14, 0
	s_wait_dscnt 0x0
	s_barrier_signal -1
	s_barrier_wait -1
	v_cmp_eq_u32_e32 vcc_lo, 0x7f, v0
	s_branch .LBB7_19
.LBB7_17:                               ;   in Loop: Header=BB7_19 Depth=1
	s_wait_xcnt 0x0
	s_or_b32 exec_lo, exec_lo, s0
	s_delay_alu instid0(SALU_CYCLE_1)
	s_xor_b32 s0, exec_lo, -1
	s_wait_storecnt_dscnt 0x0
	s_barrier_signal -1
	s_barrier_wait -1
.LBB7_18:                               ;   in Loop: Header=BB7_19 Depth=1
	s_or_b32 exec_lo, exec_lo, s13
	s_delay_alu instid0(SALU_CYCLE_1) | instskip(NEXT) | instid1(SALU_CYCLE_1)
	s_and_b32 s0, exec_lo, s0
	s_or_b32 s14, s0, s14
	s_delay_alu instid0(SALU_CYCLE_1)
	s_and_not1_b32 exec_lo, exec_lo, s14
	s_cbranch_execz .LBB7_43
.LBB7_19:                               ; =>This Loop Header: Depth=1
                                        ;     Child Loop BB7_24 Depth 2
	flat_load_b32 v0, v7, s[8:9] scope:SCOPE_SYS
	s_wait_loadcnt 0x0
	flat_load_b32 v1, v7, s[10:11] scope:SCOPE_SYS
	s_wait_loadcnt 0x0
	s_mov_b32 s16, -1
	s_mov_b32 s15, exec_lo
	s_wait_dscnt 0x0
	s_wait_xcnt 0x0
	v_cmpx_ge_u32_e64 v0, v1
	s_cbranch_execz .LBB7_21
; %bb.20:                               ;   in Loop: Header=BB7_19 Depth=1
	s_mov_b32 s13, s3
	flat_load_b32 v0, v7, s[2:3] scope:SCOPE_SYS
	s_wait_loadcnt 0x0
	flat_load_b32 v1, v7, s[12:13] scope:SCOPE_SYS
	s_wait_loadcnt_dscnt 0x0
	v_cmp_lt_u32_e64 s0, v0, v1
	s_or_not1_b32 s16, s0, exec_lo
.LBB7_21:                               ;   in Loop: Header=BB7_19 Depth=1
	s_or_b32 exec_lo, exec_lo, s15
	s_mov_b32 s0, -1
	s_and_saveexec_b32 s13, s16
	s_cbranch_execz .LBB7_18
; %bb.22:                               ;   in Loop: Header=BB7_19 Depth=1
	flat_load_b32 v6, v7, s[8:9] scope:SCOPE_SYS
	s_wait_loadcnt 0x0
	flat_load_b32 v0, v7, s[2:3] scope:SCOPE_SYS
	s_wait_loadcnt 0x0
	s_load_b32 s0, s[4:5], 0xc
	s_mov_b32 s15, 0
	s_mov_b32 s16, 0
                                        ; implicit-def: $sgpr17
	v_mov_b32_e32 v9, v5
	s_wait_kmcnt 0x0
	s_and_b32 s0, s0, 0xffff
	s_delay_alu instid0(SALU_CYCLE_1) | instskip(SKIP_4) | instid1(VALU_DEP_2)
	s_lshl_b32 s0, s0, 3
	v_mov_b32_e32 v1, v7
	s_wait_dscnt 0x1
	v_lshl_add_u64 v[2:3], v[6:7], 3, v[10:11]
	s_wait_dscnt 0x0
	v_lshl_add_u64 v[0:1], v[0:1], 3, v[12:13]
	s_delay_alu instid0(VALU_DEP_2) | instskip(NEXT) | instid1(VALU_DEP_2)
	v_add_nc_u64_e32 v[16:17], s[0:1], v[2:3]
	v_add_nc_u64_e32 v[18:19], s[0:1], v[0:1]
	global_load_b64 v[2:3], v[2:3], off
	v_add_nc_u64_e32 v[20:21], s[0:1], v[16:17]
	v_add_nc_u64_e32 v[26:27], s[0:1], v[18:19]
	s_delay_alu instid0(VALU_DEP_2) | instskip(NEXT) | instid1(VALU_DEP_2)
	v_add_nc_u64_e32 v[28:29], s[0:1], v[20:21]
	v_add_nc_u64_e32 v[30:31], s[0:1], v[26:27]
	global_load_b64 v[32:33], v[0:1], off
	global_load_b64 v[34:35], v[16:17], off
	;; [unrolled: 1-line block ×7, first 2 shown]
	s_wait_xcnt 0x5
	v_dual_add_nc_u32 v0, s0, v8 :: v_dual_mov_b32 v16, v23
	s_delay_alu instid0(VALU_DEP_1) | instskip(NEXT) | instid1(VALU_DEP_1)
	v_add_nc_u32_e32 v1, s0, v0
	v_add_nc_u32_e32 v6, s0, v1
	s_wait_loadcnt 0x7
	ds_store_b64 v8, v[2:3] offset:8
	s_wait_loadcnt 0x6
	ds_store_b64 v8, v[32:33] offset:4120
	;; [unrolled: 2-line block ×8, first 2 shown]
	flat_load_b32 v6, v7, s[8:9] scope:SCOPE_SYS
	s_wait_loadcnt 0x0
	flat_load_b32 v0, v7, s[2:3] scope:SCOPE_SYS
	s_wait_loadcnt_dscnt 0x0
	s_barrier_signal -1
	s_barrier_wait -1
	s_branch .LBB7_24
.LBB7_23:                               ;   in Loop: Header=BB7_24 Depth=2
	s_or_b32 exec_lo, exec_lo, s17
	s_delay_alu instid0(SALU_CYCLE_1) | instskip(SKIP_2) | instid1(SALU_CYCLE_1)
	s_and_b32 s0, exec_lo, s16
	s_mov_b32 s16, 0
	s_or_b32 s15, s0, s15
                                        ; implicit-def: $sgpr17
	s_and_not1_b32 exec_lo, exec_lo, s15
	s_cbranch_execz .LBB7_29
.LBB7_24:                               ;   Parent Loop BB7_19 Depth=1
                                        ; =>  This Inner Loop Header: Depth=2
	v_dual_mov_b32 v1, v16 :: v_dual_add_nc_u32 v9, 1, v9
	s_or_b32 s17, s17, exec_lo
	s_mov_b32 s18, exec_lo
                                        ; implicit-def: $vgpr16
	s_delay_alu instid0(VALU_DEP_1) | instskip(SKIP_2) | instid1(VALU_DEP_3)
	v_not_b32_e32 v2, v1
	v_lshlrev_b32_e32 v15, 3, v1
	v_lshrrev_b32_e32 v9, 1, v9
	v_lshl_add_u32 v17, v2, 3, v24
	ds_load_b64 v[2:3], v15
	ds_load_b64 v[18:19], v17 offset:4128
	s_wait_dscnt 0x0
	v_cmpx_ngt_f64_e32 v[2:3], v[18:19]
; %bb.25:                               ;   in Loop: Header=BB7_24 Depth=2
	v_add_nc_u32_e32 v16, v9, v1
	s_and_not1_b32 s17, s17, exec_lo
; %bb.26:                               ;   in Loop: Header=BB7_24 Depth=2
	s_or_b32 exec_lo, exec_lo, s18
	s_delay_alu instid0(SALU_CYCLE_1) | instskip(NEXT) | instid1(SALU_CYCLE_1)
	s_and_b32 s0, exec_lo, s17
	s_or_b32 s16, s0, s16
	s_delay_alu instid0(SALU_CYCLE_1)
	s_and_not1_b32 exec_lo, exec_lo, s16
	s_cbranch_execnz .LBB7_24
; %bb.27:                               ;   in Loop: Header=BB7_24 Depth=2
	s_or_b32 exec_lo, exec_lo, s16
	v_add_nc_u32_e32 v16, -8, v15
	s_mov_b32 s16, -1
	ds_load_b64 v[18:19], v16
	ds_load_b64 v[16:17], v17 offset:4136
	s_wait_dscnt 0x0
	v_cmp_nle_f64_e64 s0, v[18:19], v[16:17]
                                        ; implicit-def: $vgpr16
	s_and_saveexec_b32 s17, s0
	s_cbranch_execz .LBB7_23
; %bb.28:                               ;   in Loop: Header=BB7_24 Depth=2
	v_sub_nc_u32_e32 v16, v1, v9
	s_xor_b32 s16, exec_lo, -1
	s_branch .LBB7_23
.LBB7_29:                               ;   in Loop: Header=BB7_19 Depth=1
	s_or_b32 exec_lo, exec_lo, s15
	v_sub_nc_u32_e32 v9, v4, v1
                                        ; implicit-def: $vgpr18_vgpr19
                                        ; implicit-def: $vgpr25
	s_delay_alu instid0(VALU_DEP_1) | instskip(SKIP_4) | instid1(SALU_CYCLE_1)
	v_lshlrev_b32_e32 v26, 3, v9
	ds_load_b64 v[16:17], v26 offset:4128
	s_wait_dscnt 0x0
	v_cmp_ngt_f64_e64 s0, v[2:3], v[16:17]
	s_and_saveexec_b32 s15, s0
	s_xor_b32 s0, exec_lo, s15
; %bb.30:                               ;   in Loop: Header=BB7_19 Depth=1
	ds_load_b64 v[18:19], v15 offset:8
	v_add_nc_u32_e32 v25, 1, v1
                                        ; implicit-def: $vgpr26
; %bb.31:                               ;   in Loop: Header=BB7_19 Depth=1
	s_or_saveexec_b32 s0, s0
	v_mov_b64_e32 v[20:21], v[16:17]
	v_sub_nc_u32_e32 v9, v22, v1
	s_xor_b32 exec_lo, exec_lo, s0
	s_cbranch_execz .LBB7_33
; %bb.32:                               ;   in Loop: Header=BB7_19 Depth=1
	ds_load_b64 v[20:21], v26 offset:4136
	s_wait_dscnt 0x1
	v_mov_b64_e32 v[18:19], v[2:3]
	v_mov_b64_e32 v[2:3], v[16:17]
	v_dual_add_nc_u32 v9, 1, v9 :: v_dual_mov_b32 v25, v1
.LBB7_33:                               ;   in Loop: Header=BB7_19 Depth=1
	s_or_b32 exec_lo, exec_lo, s0
	s_wait_dscnt 0x0
	s_delay_alu instid0(VALU_DEP_2) | instskip(SKIP_2) | instid1(VALU_DEP_1)
	v_cmp_ngt_f64_e64 s0, v[18:19], v[20:21]
	v_dual_mov_b32 v1, v7 :: v_dual_mov_b32 v15, v7
	v_lshl_add_u64 v[16:17], v[6:7], 3, s[6:7]
                                        ; implicit-def: $vgpr6
	v_lshl_add_u64 v[0:1], v[0:1], 3, v[16:17]
	s_delay_alu instid0(VALU_DEP_1) | instskip(SKIP_3) | instid1(SALU_CYCLE_1)
	v_add_nc_u64_e32 v[16:17], v[0:1], v[14:15]
                                        ; implicit-def: $vgpr0_vgpr1
	global_store_b64 v[16:17], v[2:3], off
	s_wait_xcnt 0x0
	s_and_saveexec_b32 s15, s0
	s_xor_b32 s0, exec_lo, s15
; %bb.34:                               ;   in Loop: Header=BB7_19 Depth=1
	v_dual_lshlrev_b32 v0, 3, v25 :: v_dual_add_nc_u32 v6, 1, v25
                                        ; implicit-def: $vgpr25
	ds_load_b64 v[0:1], v0 offset:8
; %bb.35:                               ;   in Loop: Header=BB7_19 Depth=1
	s_or_saveexec_b32 s0, s0
	v_mov_b64_e32 v[2:3], v[20:21]
	s_xor_b32 exec_lo, exec_lo, s0
	s_cbranch_execz .LBB7_37
; %bb.36:                               ;   in Loop: Header=BB7_19 Depth=1
	s_wait_dscnt 0x0
	v_dual_lshlrev_b32 v0, 3, v9 :: v_dual_add_nc_u32 v9, 1, v9
	v_mov_b32_e32 v6, v25
	ds_load_b64 v[2:3], v0 offset:4120
	v_mov_b64_e32 v[0:1], v[18:19]
	v_mov_b64_e32 v[18:19], v[20:21]
.LBB7_37:                               ;   in Loop: Header=BB7_19 Depth=1
	s_or_b32 exec_lo, exec_lo, s0
	s_wait_dscnt 0x0
	s_delay_alu instid0(VALU_DEP_1) | instskip(SKIP_3) | instid1(SALU_CYCLE_1)
	v_cmp_ngt_f64_e64 s0, v[0:1], v[2:3]
	global_store_b64 v[16:17], v[18:19], off offset:8
                                        ; implicit-def: $vgpr18_vgpr19
	s_wait_xcnt 0x0
	s_and_saveexec_b32 s15, s0
	s_xor_b32 s0, exec_lo, s15
; %bb.38:                               ;   in Loop: Header=BB7_19 Depth=1
	v_dual_lshlrev_b32 v15, 3, v6 :: v_dual_add_nc_u32 v9, -1, v9
	ds_load_b64 v[18:19], v15 offset:8
; %bb.39:                               ;   in Loop: Header=BB7_19 Depth=1
	s_or_saveexec_b32 s0, s0
	v_mov_b64_e32 v[20:21], v[2:3]
	s_xor_b32 exec_lo, exec_lo, s0
	s_cbranch_execz .LBB7_41
; %bb.40:                               ;   in Loop: Header=BB7_19 Depth=1
	v_dual_lshlrev_b32 v15, 3, v9 :: v_dual_add_nc_u32 v6, -1, v6
	s_wait_dscnt 0x0
	v_mov_b64_e32 v[18:19], v[0:1]
	v_mov_b64_e32 v[0:1], v[2:3]
	ds_load_b64 v[20:21], v15 offset:4120
.LBB7_41:                               ;   in Loop: Header=BB7_19 Depth=1
	s_or_b32 exec_lo, exec_lo, s0
	s_wait_dscnt 0x0
	s_delay_alu instid0(VALU_DEP_1) | instskip(NEXT) | instid1(VALU_DEP_1)
	v_cmp_gt_f64_e64 s0, v[18:19], v[20:21]
	v_dual_cndmask_b32 v3, v19, v21, s0 :: v_dual_cndmask_b32 v2, v18, v20, s0
	global_store_b128 v[16:17], v[0:3], off offset:16
	s_wait_xcnt 0x0
	s_and_saveexec_b32 s0, vcc_lo
	s_cbranch_execz .LBB7_17
; %bb.42:                               ;   in Loop: Header=BB7_19 Depth=1
	flat_load_b32 v0, v7, s[8:9] scope:SCOPE_SYS
	s_wait_loadcnt_dscnt 0x0
	v_add_nc_u32_e32 v0, v0, v6
	flat_store_b32 v7, v0, s[8:9] scope:SCOPE_SYS
	s_wait_storecnt 0x0
	flat_load_b32 v0, v7, s[2:3] scope:SCOPE_SYS
	s_wait_loadcnt_dscnt 0x0
	v_add_nc_u32_e32 v0, v0, v9
	flat_store_b32 v7, v0, s[2:3] scope:SCOPE_SYS
	s_wait_storecnt 0x0
	s_branch .LBB7_17
.LBB7_43:
	s_endpgm
	.section	.rodata,"a",@progbits
	.p2align	6, 0x0
	.amdhsa_kernel _Z15mergeSinglePathIdLb0ELb0EEvPKT_jS2_jPKjPS0_j
		.amdhsa_group_segment_fixed_size 8240
		.amdhsa_private_segment_fixed_size 0
		.amdhsa_kernarg_size 312
		.amdhsa_user_sgpr_count 2
		.amdhsa_user_sgpr_dispatch_ptr 0
		.amdhsa_user_sgpr_queue_ptr 0
		.amdhsa_user_sgpr_kernarg_segment_ptr 1
		.amdhsa_user_sgpr_dispatch_id 0
		.amdhsa_user_sgpr_kernarg_preload_length 0
		.amdhsa_user_sgpr_kernarg_preload_offset 0
		.amdhsa_user_sgpr_private_segment_size 0
		.amdhsa_wavefront_size32 1
		.amdhsa_uses_dynamic_stack 0
		.amdhsa_enable_private_segment 0
		.amdhsa_system_sgpr_workgroup_id_x 1
		.amdhsa_system_sgpr_workgroup_id_y 0
		.amdhsa_system_sgpr_workgroup_id_z 0
		.amdhsa_system_sgpr_workgroup_info 0
		.amdhsa_system_vgpr_workitem_id 0
		.amdhsa_next_free_vgpr 46
		.amdhsa_next_free_sgpr 19
		.amdhsa_named_barrier_count 0
		.amdhsa_reserve_vcc 1
		.amdhsa_float_round_mode_32 0
		.amdhsa_float_round_mode_16_64 0
		.amdhsa_float_denorm_mode_32 3
		.amdhsa_float_denorm_mode_16_64 3
		.amdhsa_fp16_overflow 0
		.amdhsa_memory_ordered 1
		.amdhsa_forward_progress 1
		.amdhsa_inst_pref_size 16
		.amdhsa_round_robin_scheduling 0
		.amdhsa_exception_fp_ieee_invalid_op 0
		.amdhsa_exception_fp_denorm_src 0
		.amdhsa_exception_fp_ieee_div_zero 0
		.amdhsa_exception_fp_ieee_overflow 0
		.amdhsa_exception_fp_ieee_underflow 0
		.amdhsa_exception_fp_ieee_inexact 0
		.amdhsa_exception_int_div_zero 0
	.end_amdhsa_kernel
	.section	.text._Z15mergeSinglePathIdLb0ELb0EEvPKT_jS2_jPKjPS0_j,"axG",@progbits,_Z15mergeSinglePathIdLb0ELb0EEvPKT_jS2_jPKjPS0_j,comdat
.Lfunc_end7:
	.size	_Z15mergeSinglePathIdLb0ELb0EEvPKT_jS2_jPKjPS0_j, .Lfunc_end7-_Z15mergeSinglePathIdLb0ELb0EEvPKT_jS2_jPKjPS0_j
                                        ; -- End function
	.set _Z15mergeSinglePathIdLb0ELb0EEvPKT_jS2_jPKjPS0_j.num_vgpr, 46
	.set _Z15mergeSinglePathIdLb0ELb0EEvPKT_jS2_jPKjPS0_j.num_agpr, 0
	.set _Z15mergeSinglePathIdLb0ELb0EEvPKT_jS2_jPKjPS0_j.numbered_sgpr, 19
	.set _Z15mergeSinglePathIdLb0ELb0EEvPKT_jS2_jPKjPS0_j.num_named_barrier, 0
	.set _Z15mergeSinglePathIdLb0ELb0EEvPKT_jS2_jPKjPS0_j.private_seg_size, 0
	.set _Z15mergeSinglePathIdLb0ELb0EEvPKT_jS2_jPKjPS0_j.uses_vcc, 1
	.set _Z15mergeSinglePathIdLb0ELb0EEvPKT_jS2_jPKjPS0_j.uses_flat_scratch, 0
	.set _Z15mergeSinglePathIdLb0ELb0EEvPKT_jS2_jPKjPS0_j.has_dyn_sized_stack, 0
	.set _Z15mergeSinglePathIdLb0ELb0EEvPKT_jS2_jPKjPS0_j.has_recursion, 0
	.set _Z15mergeSinglePathIdLb0ELb0EEvPKT_jS2_jPKjPS0_j.has_indirect_call, 0
	.section	.AMDGPU.csdata,"",@progbits
; Kernel info:
; codeLenInByte = 2044
; TotalNumSgprs: 21
; NumVgprs: 46
; ScratchSize: 0
; MemoryBound: 0
; FloatMode: 240
; IeeeMode: 1
; LDSByteSize: 8240 bytes/workgroup (compile time only)
; SGPRBlocks: 0
; VGPRBlocks: 2
; NumSGPRsForWavesPerEU: 21
; NumVGPRsForWavesPerEU: 46
; NamedBarCnt: 0
; Occupancy: 16
; WaveLimiterHint : 1
; COMPUTE_PGM_RSRC2:SCRATCH_EN: 0
; COMPUTE_PGM_RSRC2:USER_SGPR: 2
; COMPUTE_PGM_RSRC2:TRAP_HANDLER: 0
; COMPUTE_PGM_RSRC2:TGID_X_EN: 1
; COMPUTE_PGM_RSRC2:TGID_Y_EN: 0
; COMPUTE_PGM_RSRC2:TGID_Z_EN: 0
; COMPUTE_PGM_RSRC2:TIDIG_COMP_CNT: 0
	.section	.AMDGPU.gpr_maximums,"",@progbits
	.set amdgpu.max_num_vgpr, 0
	.set amdgpu.max_num_agpr, 0
	.set amdgpu.max_num_sgpr, 0
	.section	.AMDGPU.csdata,"",@progbits
	.type	__hip_cuid_3a053f1502060f44,@object ; @__hip_cuid_3a053f1502060f44
	.section	.bss,"aw",@nobits
	.globl	__hip_cuid_3a053f1502060f44
__hip_cuid_3a053f1502060f44:
	.byte	0                               ; 0x0
	.size	__hip_cuid_3a053f1502060f44, 1

	.ident	"AMD clang version 22.0.0git (https://github.com/RadeonOpenCompute/llvm-project roc-7.2.4 26084 f58b06dce1f9c15707c5f808fd002e18c2accf7e)"
	.section	".note.GNU-stack","",@progbits
	.addrsig
	.addrsig_sym __hip_cuid_3a053f1502060f44
	.amdgpu_metadata
---
amdhsa.kernels:
  - .args:
      - .actual_access:  read_only
        .address_space:  global
        .offset:         0
        .size:           8
        .value_kind:     global_buffer
      - .offset:         8
        .size:           4
        .value_kind:     by_value
      - .actual_access:  read_only
        .address_space:  global
        .offset:         16
        .size:           8
        .value_kind:     global_buffer
      - .offset:         24
        .size:           4
        .value_kind:     by_value
      - .actual_access:  write_only
        .address_space:  global
        .offset:         32
        .size:           8
        .value_kind:     global_buffer
      - .offset:         40
        .size:           4
        .value_kind:     hidden_block_count_x
      - .offset:         44
        .size:           4
        .value_kind:     hidden_block_count_y
      - .offset:         48
        .size:           4
        .value_kind:     hidden_block_count_z
      - .offset:         52
        .size:           2
        .value_kind:     hidden_group_size_x
      - .offset:         54
        .size:           2
        .value_kind:     hidden_group_size_y
      - .offset:         56
        .size:           2
        .value_kind:     hidden_group_size_z
      - .offset:         58
        .size:           2
        .value_kind:     hidden_remainder_x
      - .offset:         60
        .size:           2
        .value_kind:     hidden_remainder_y
      - .offset:         62
        .size:           2
        .value_kind:     hidden_remainder_z
      - .offset:         80
        .size:           8
        .value_kind:     hidden_global_offset_x
      - .offset:         88
        .size:           8
        .value_kind:     hidden_global_offset_y
      - .offset:         96
        .size:           8
        .value_kind:     hidden_global_offset_z
      - .offset:         104
        .size:           2
        .value_kind:     hidden_grid_dims
    .group_segment_fixed_size: 148
    .kernarg_segment_align: 8
    .kernarg_segment_size: 296
    .language:       OpenCL C
    .language_version:
      - 2
      - 0
    .max_flat_workgroup_size: 1024
    .name:           _Z17workloadDiagonalsIjEvPKT_jS2_jPj
    .private_segment_fixed_size: 0
    .sgpr_count:     34
    .sgpr_spill_count: 0
    .symbol:         _Z17workloadDiagonalsIjEvPKT_jS2_jPj.kd
    .uniform_work_group_size: 1
    .uses_dynamic_stack: false
    .vgpr_count:     14
    .vgpr_spill_count: 0
    .wavefront_size: 32
  - .args:
      - .actual_access:  read_only
        .address_space:  global
        .offset:         0
        .size:           8
        .value_kind:     global_buffer
      - .offset:         8
        .size:           4
        .value_kind:     by_value
      - .actual_access:  read_only
        .address_space:  global
        .offset:         16
        .size:           8
        .value_kind:     global_buffer
      - .offset:         24
        .size:           4
        .value_kind:     by_value
      - .actual_access:  read_only
        .address_space:  global
        .offset:         32
        .size:           8
        .value_kind:     global_buffer
      - .actual_access:  write_only
        .address_space:  global
        .offset:         40
        .size:           8
        .value_kind:     global_buffer
      - .offset:         48
        .size:           4
        .value_kind:     by_value
      - .offset:         56
        .size:           4
        .value_kind:     hidden_block_count_x
      - .offset:         60
        .size:           4
        .value_kind:     hidden_block_count_y
      - .offset:         64
        .size:           4
        .value_kind:     hidden_block_count_z
      - .offset:         68
        .size:           2
        .value_kind:     hidden_group_size_x
      - .offset:         70
        .size:           2
        .value_kind:     hidden_group_size_y
      - .offset:         72
        .size:           2
        .value_kind:     hidden_group_size_z
      - .offset:         74
        .size:           2
        .value_kind:     hidden_remainder_x
      - .offset:         76
        .size:           2
        .value_kind:     hidden_remainder_y
      - .offset:         78
        .size:           2
        .value_kind:     hidden_remainder_z
      - .offset:         96
        .size:           8
        .value_kind:     hidden_global_offset_x
      - .offset:         104
        .size:           8
        .value_kind:     hidden_global_offset_y
      - .offset:         112
        .size:           8
        .value_kind:     hidden_global_offset_z
      - .offset:         120
        .size:           2
        .value_kind:     hidden_grid_dims
    .group_segment_fixed_size: 4128
    .kernarg_segment_align: 8
    .kernarg_segment_size: 312
    .language:       OpenCL C
    .language_version:
      - 2
      - 0
    .max_flat_workgroup_size: 1024
    .name:           _Z15mergeSinglePathIjLb0ELb0EEvPKT_jS2_jPKjPS0_j
    .private_segment_fixed_size: 0
    .sgpr_count:     21
    .sgpr_spill_count: 0
    .symbol:         _Z15mergeSinglePathIjLb0ELb0EEvPKT_jS2_jPKjPS0_j.kd
    .uniform_work_group_size: 1
    .uses_dynamic_stack: false
    .vgpr_count:     33
    .vgpr_spill_count: 0
    .wavefront_size: 32
  - .args:
      - .actual_access:  read_only
        .address_space:  global
        .offset:         0
        .size:           8
        .value_kind:     global_buffer
      - .offset:         8
        .size:           4
        .value_kind:     by_value
      - .actual_access:  read_only
        .address_space:  global
        .offset:         16
        .size:           8
        .value_kind:     global_buffer
      - .offset:         24
        .size:           4
        .value_kind:     by_value
      - .actual_access:  write_only
        .address_space:  global
        .offset:         32
        .size:           8
        .value_kind:     global_buffer
      - .offset:         40
        .size:           4
        .value_kind:     hidden_block_count_x
      - .offset:         44
        .size:           4
        .value_kind:     hidden_block_count_y
      - .offset:         48
        .size:           4
        .value_kind:     hidden_block_count_z
      - .offset:         52
        .size:           2
        .value_kind:     hidden_group_size_x
      - .offset:         54
        .size:           2
        .value_kind:     hidden_group_size_y
      - .offset:         56
        .size:           2
        .value_kind:     hidden_group_size_z
      - .offset:         58
        .size:           2
        .value_kind:     hidden_remainder_x
      - .offset:         60
        .size:           2
        .value_kind:     hidden_remainder_y
      - .offset:         62
        .size:           2
        .value_kind:     hidden_remainder_z
      - .offset:         80
        .size:           8
        .value_kind:     hidden_global_offset_x
      - .offset:         88
        .size:           8
        .value_kind:     hidden_global_offset_y
      - .offset:         96
        .size:           8
        .value_kind:     hidden_global_offset_z
      - .offset:         104
        .size:           2
        .value_kind:     hidden_grid_dims
    .group_segment_fixed_size: 148
    .kernarg_segment_align: 8
    .kernarg_segment_size: 296
    .language:       OpenCL C
    .language_version:
      - 2
      - 0
    .max_flat_workgroup_size: 1024
    .name:           _Z17workloadDiagonalsIfEvPKT_jS2_jPj
    .private_segment_fixed_size: 0
    .sgpr_count:     34
    .sgpr_spill_count: 0
    .symbol:         _Z17workloadDiagonalsIfEvPKT_jS2_jPj.kd
    .uniform_work_group_size: 1
    .uses_dynamic_stack: false
    .vgpr_count:     14
    .vgpr_spill_count: 0
    .wavefront_size: 32
  - .args:
      - .actual_access:  read_only
        .address_space:  global
        .offset:         0
        .size:           8
        .value_kind:     global_buffer
      - .offset:         8
        .size:           4
        .value_kind:     by_value
      - .actual_access:  read_only
        .address_space:  global
        .offset:         16
        .size:           8
        .value_kind:     global_buffer
      - .offset:         24
        .size:           4
        .value_kind:     by_value
      - .actual_access:  read_only
        .address_space:  global
        .offset:         32
        .size:           8
        .value_kind:     global_buffer
      - .actual_access:  write_only
        .address_space:  global
        .offset:         40
        .size:           8
        .value_kind:     global_buffer
      - .offset:         48
        .size:           4
        .value_kind:     by_value
      - .offset:         56
        .size:           4
        .value_kind:     hidden_block_count_x
      - .offset:         60
        .size:           4
        .value_kind:     hidden_block_count_y
      - .offset:         64
        .size:           4
        .value_kind:     hidden_block_count_z
      - .offset:         68
        .size:           2
        .value_kind:     hidden_group_size_x
      - .offset:         70
        .size:           2
        .value_kind:     hidden_group_size_y
      - .offset:         72
        .size:           2
        .value_kind:     hidden_group_size_z
      - .offset:         74
        .size:           2
        .value_kind:     hidden_remainder_x
      - .offset:         76
        .size:           2
        .value_kind:     hidden_remainder_y
      - .offset:         78
        .size:           2
        .value_kind:     hidden_remainder_z
      - .offset:         96
        .size:           8
        .value_kind:     hidden_global_offset_x
      - .offset:         104
        .size:           8
        .value_kind:     hidden_global_offset_y
      - .offset:         112
        .size:           8
        .value_kind:     hidden_global_offset_z
      - .offset:         120
        .size:           2
        .value_kind:     hidden_grid_dims
    .group_segment_fixed_size: 4128
    .kernarg_segment_align: 8
    .kernarg_segment_size: 312
    .language:       OpenCL C
    .language_version:
      - 2
      - 0
    .max_flat_workgroup_size: 1024
    .name:           _Z15mergeSinglePathIfLb0ELb0EEvPKT_jS2_jPKjPS0_j
    .private_segment_fixed_size: 0
    .sgpr_count:     21
    .sgpr_spill_count: 0
    .symbol:         _Z15mergeSinglePathIfLb0ELb0EEvPKT_jS2_jPKjPS0_j.kd
    .uniform_work_group_size: 1
    .uses_dynamic_stack: false
    .vgpr_count:     33
    .vgpr_spill_count: 0
    .wavefront_size: 32
  - .args:
      - .actual_access:  read_only
        .address_space:  global
        .offset:         0
        .size:           8
        .value_kind:     global_buffer
      - .offset:         8
        .size:           4
        .value_kind:     by_value
      - .actual_access:  read_only
        .address_space:  global
        .offset:         16
        .size:           8
        .value_kind:     global_buffer
      - .offset:         24
        .size:           4
        .value_kind:     by_value
      - .actual_access:  write_only
        .address_space:  global
        .offset:         32
        .size:           8
        .value_kind:     global_buffer
      - .offset:         40
        .size:           4
        .value_kind:     hidden_block_count_x
      - .offset:         44
        .size:           4
        .value_kind:     hidden_block_count_y
      - .offset:         48
        .size:           4
        .value_kind:     hidden_block_count_z
      - .offset:         52
        .size:           2
        .value_kind:     hidden_group_size_x
      - .offset:         54
        .size:           2
        .value_kind:     hidden_group_size_y
      - .offset:         56
        .size:           2
        .value_kind:     hidden_group_size_z
      - .offset:         58
        .size:           2
        .value_kind:     hidden_remainder_x
      - .offset:         60
        .size:           2
        .value_kind:     hidden_remainder_y
      - .offset:         62
        .size:           2
        .value_kind:     hidden_remainder_z
      - .offset:         80
        .size:           8
        .value_kind:     hidden_global_offset_x
      - .offset:         88
        .size:           8
        .value_kind:     hidden_global_offset_y
      - .offset:         96
        .size:           8
        .value_kind:     hidden_global_offset_z
      - .offset:         104
        .size:           2
        .value_kind:     hidden_grid_dims
    .group_segment_fixed_size: 148
    .kernarg_segment_align: 8
    .kernarg_segment_size: 296
    .language:       OpenCL C
    .language_version:
      - 2
      - 0
    .max_flat_workgroup_size: 1024
    .name:           _Z17workloadDiagonalsImEvPKT_jS2_jPj
    .private_segment_fixed_size: 0
    .sgpr_count:     34
    .sgpr_spill_count: 0
    .symbol:         _Z17workloadDiagonalsImEvPKT_jS2_jPj.kd
    .uniform_work_group_size: 1
    .uses_dynamic_stack: false
    .vgpr_count:     14
    .vgpr_spill_count: 0
    .wavefront_size: 32
  - .args:
      - .actual_access:  read_only
        .address_space:  global
        .offset:         0
        .size:           8
        .value_kind:     global_buffer
      - .offset:         8
        .size:           4
        .value_kind:     by_value
      - .actual_access:  read_only
        .address_space:  global
        .offset:         16
        .size:           8
        .value_kind:     global_buffer
      - .offset:         24
        .size:           4
        .value_kind:     by_value
      - .actual_access:  read_only
        .address_space:  global
        .offset:         32
        .size:           8
        .value_kind:     global_buffer
      - .actual_access:  write_only
        .address_space:  global
        .offset:         40
        .size:           8
        .value_kind:     global_buffer
      - .offset:         48
        .size:           4
        .value_kind:     by_value
      - .offset:         56
        .size:           4
        .value_kind:     hidden_block_count_x
      - .offset:         60
        .size:           4
        .value_kind:     hidden_block_count_y
      - .offset:         64
        .size:           4
        .value_kind:     hidden_block_count_z
      - .offset:         68
        .size:           2
        .value_kind:     hidden_group_size_x
      - .offset:         70
        .size:           2
        .value_kind:     hidden_group_size_y
      - .offset:         72
        .size:           2
        .value_kind:     hidden_group_size_z
      - .offset:         74
        .size:           2
        .value_kind:     hidden_remainder_x
      - .offset:         76
        .size:           2
        .value_kind:     hidden_remainder_y
      - .offset:         78
        .size:           2
        .value_kind:     hidden_remainder_z
      - .offset:         96
        .size:           8
        .value_kind:     hidden_global_offset_x
      - .offset:         104
        .size:           8
        .value_kind:     hidden_global_offset_y
      - .offset:         112
        .size:           8
        .value_kind:     hidden_global_offset_z
      - .offset:         120
        .size:           2
        .value_kind:     hidden_grid_dims
    .group_segment_fixed_size: 8240
    .kernarg_segment_align: 8
    .kernarg_segment_size: 312
    .language:       OpenCL C
    .language_version:
      - 2
      - 0
    .max_flat_workgroup_size: 1024
    .name:           _Z15mergeSinglePathImLb0ELb0EEvPKT_jS2_jPKjPS0_j
    .private_segment_fixed_size: 0
    .sgpr_count:     21
    .sgpr_spill_count: 0
    .symbol:         _Z15mergeSinglePathImLb0ELb0EEvPKT_jS2_jPKjPS0_j.kd
    .uniform_work_group_size: 1
    .uses_dynamic_stack: false
    .vgpr_count:     46
    .vgpr_spill_count: 0
    .wavefront_size: 32
  - .args:
      - .actual_access:  read_only
        .address_space:  global
        .offset:         0
        .size:           8
        .value_kind:     global_buffer
      - .offset:         8
        .size:           4
        .value_kind:     by_value
      - .actual_access:  read_only
        .address_space:  global
        .offset:         16
        .size:           8
        .value_kind:     global_buffer
      - .offset:         24
        .size:           4
        .value_kind:     by_value
      - .actual_access:  write_only
        .address_space:  global
        .offset:         32
        .size:           8
        .value_kind:     global_buffer
      - .offset:         40
        .size:           4
        .value_kind:     hidden_block_count_x
      - .offset:         44
        .size:           4
        .value_kind:     hidden_block_count_y
      - .offset:         48
        .size:           4
        .value_kind:     hidden_block_count_z
      - .offset:         52
        .size:           2
        .value_kind:     hidden_group_size_x
      - .offset:         54
        .size:           2
        .value_kind:     hidden_group_size_y
      - .offset:         56
        .size:           2
        .value_kind:     hidden_group_size_z
      - .offset:         58
        .size:           2
        .value_kind:     hidden_remainder_x
      - .offset:         60
        .size:           2
        .value_kind:     hidden_remainder_y
      - .offset:         62
        .size:           2
        .value_kind:     hidden_remainder_z
      - .offset:         80
        .size:           8
        .value_kind:     hidden_global_offset_x
      - .offset:         88
        .size:           8
        .value_kind:     hidden_global_offset_y
      - .offset:         96
        .size:           8
        .value_kind:     hidden_global_offset_z
      - .offset:         104
        .size:           2
        .value_kind:     hidden_grid_dims
    .group_segment_fixed_size: 148
    .kernarg_segment_align: 8
    .kernarg_segment_size: 296
    .language:       OpenCL C
    .language_version:
      - 2
      - 0
    .max_flat_workgroup_size: 1024
    .name:           _Z17workloadDiagonalsIdEvPKT_jS2_jPj
    .private_segment_fixed_size: 0
    .sgpr_count:     34
    .sgpr_spill_count: 0
    .symbol:         _Z17workloadDiagonalsIdEvPKT_jS2_jPj.kd
    .uniform_work_group_size: 1
    .uses_dynamic_stack: false
    .vgpr_count:     14
    .vgpr_spill_count: 0
    .wavefront_size: 32
  - .args:
      - .actual_access:  read_only
        .address_space:  global
        .offset:         0
        .size:           8
        .value_kind:     global_buffer
      - .offset:         8
        .size:           4
        .value_kind:     by_value
      - .actual_access:  read_only
        .address_space:  global
        .offset:         16
        .size:           8
        .value_kind:     global_buffer
      - .offset:         24
        .size:           4
        .value_kind:     by_value
      - .actual_access:  read_only
        .address_space:  global
        .offset:         32
        .size:           8
        .value_kind:     global_buffer
      - .actual_access:  write_only
        .address_space:  global
        .offset:         40
        .size:           8
        .value_kind:     global_buffer
      - .offset:         48
        .size:           4
        .value_kind:     by_value
      - .offset:         56
        .size:           4
        .value_kind:     hidden_block_count_x
      - .offset:         60
        .size:           4
        .value_kind:     hidden_block_count_y
      - .offset:         64
        .size:           4
        .value_kind:     hidden_block_count_z
      - .offset:         68
        .size:           2
        .value_kind:     hidden_group_size_x
      - .offset:         70
        .size:           2
        .value_kind:     hidden_group_size_y
      - .offset:         72
        .size:           2
        .value_kind:     hidden_group_size_z
      - .offset:         74
        .size:           2
        .value_kind:     hidden_remainder_x
      - .offset:         76
        .size:           2
        .value_kind:     hidden_remainder_y
      - .offset:         78
        .size:           2
        .value_kind:     hidden_remainder_z
      - .offset:         96
        .size:           8
        .value_kind:     hidden_global_offset_x
      - .offset:         104
        .size:           8
        .value_kind:     hidden_global_offset_y
      - .offset:         112
        .size:           8
        .value_kind:     hidden_global_offset_z
      - .offset:         120
        .size:           2
        .value_kind:     hidden_grid_dims
    .group_segment_fixed_size: 8240
    .kernarg_segment_align: 8
    .kernarg_segment_size: 312
    .language:       OpenCL C
    .language_version:
      - 2
      - 0
    .max_flat_workgroup_size: 1024
    .name:           _Z15mergeSinglePathIdLb0ELb0EEvPKT_jS2_jPKjPS0_j
    .private_segment_fixed_size: 0
    .sgpr_count:     21
    .sgpr_spill_count: 0
    .symbol:         _Z15mergeSinglePathIdLb0ELb0EEvPKT_jS2_jPKjPS0_j.kd
    .uniform_work_group_size: 1
    .uses_dynamic_stack: false
    .vgpr_count:     46
    .vgpr_spill_count: 0
    .wavefront_size: 32
amdhsa.target:   amdgcn-amd-amdhsa--gfx1250
amdhsa.version:
  - 1
  - 2
...

	.end_amdgpu_metadata
